;; amdgpu-corpus repo=ROCm/rocFFT kind=compiled arch=gfx1201 opt=O3
	.text
	.amdgcn_target "amdgcn-amd-amdhsa--gfx1201"
	.amdhsa_code_object_version 6
	.protected	bluestein_single_back_len2250_dim1_half_op_CI_CI ; -- Begin function bluestein_single_back_len2250_dim1_half_op_CI_CI
	.globl	bluestein_single_back_len2250_dim1_half_op_CI_CI
	.p2align	8
	.type	bluestein_single_back_len2250_dim1_half_op_CI_CI,@function
bluestein_single_back_len2250_dim1_half_op_CI_CI: ; @bluestein_single_back_len2250_dim1_half_op_CI_CI
; %bb.0:
	s_load_b128 s[12:15], s[0:1], 0x28
	v_mul_u32_u24_e32 v1, 0x2d9, v0
	s_mov_b32 s2, exec_lo
	v_mov_b32_e32 v43, 0
	s_delay_alu instid0(VALU_DEP_2) | instskip(NEXT) | instid1(VALU_DEP_1)
	v_lshrrev_b32_e32 v1, 16, v1
	v_add_nc_u32_e32 v42, ttmp9, v1
	s_wait_kmcnt 0x0
	s_delay_alu instid0(VALU_DEP_1)
	v_cmpx_gt_u64_e64 s[12:13], v[42:43]
	s_cbranch_execz .LBB0_31
; %bb.1:
	s_clause 0x1
	s_load_b128 s[4:7], s[0:1], 0x18
	s_load_b64 s[12:13], s[0:1], 0x0
	v_mul_lo_u16 v1, 0x5a, v1
	s_delay_alu instid0(VALU_DEP_1) | instskip(NEXT) | instid1(VALU_DEP_1)
	v_sub_nc_u16 v7, v0, v1
	v_and_b32_e32 v142, 0xffff, v7
	s_wait_kmcnt 0x0
	s_load_b128 s[8:11], s[4:5], 0x0
	s_wait_kmcnt 0x0
	v_mad_co_u64_u32 v[0:1], null, s10, v42, 0
	v_mad_co_u64_u32 v[2:3], null, s8, v142, 0
	s_mul_u64 s[2:3], s[8:9], 0xe1
	s_delay_alu instid0(VALU_DEP_1) | instskip(SKIP_3) | instid1(SALU_CYCLE_1)
	v_mad_co_u64_u32 v[4:5], null, s11, v42, v[1:2]
	s_lshl_b64 s[10:11], s[2:3], 2
	s_movk_i32 s2, 0xf871
	s_mov_b32 s3, -1
	s_mul_u64 s[2:3], s[8:9], s[2:3]
	s_delay_alu instid0(VALU_DEP_1) | instskip(SKIP_3) | instid1(VALU_DEP_3)
	v_mov_b32_e32 v1, v4
	v_mad_co_u64_u32 v[5:6], null, s9, v142, v[3:4]
	v_lshlrev_b32_e32 v110, 2, v142
	s_lshl_b64 s[2:3], s[2:3], 2
	v_lshlrev_b64_e32 v[0:1], 2, v[0:1]
	s_load_b64 s[8:9], s[0:1], 0x38
	s_delay_alu instid0(VALU_DEP_3)
	v_mov_b32_e32 v3, v5
	s_clause 0x2
	global_load_b32 v147, v110, s[12:13]
	global_load_b32 v138, v110, s[12:13] offset:3600
	global_load_b32 v131, v110, s[12:13] offset:7200
	v_add_co_u32 v0, vcc_lo, s14, v0
	v_add_co_ci_u32_e32 v1, vcc_lo, s15, v1, vcc_lo
	v_lshlrev_b64_e32 v[2:3], 2, v[2:3]
	s_clause 0xd
	global_load_b32 v122, v110, s[12:13] offset:3060
	global_load_b32 v143, v110, s[12:13] offset:2700
	;; [unrolled: 1-line block ×14, first 2 shown]
	v_add_co_u32 v0, vcc_lo, v0, v2
	s_wait_alu 0xfffd
	v_add_co_ci_u32_e32 v1, vcc_lo, v1, v3, vcc_lo
	s_clause 0x2
	global_load_b32 v132, v110, s[12:13] offset:8100
	global_load_b32 v111, v110, s[12:13] offset:8460
	;; [unrolled: 1-line block ×3, first 2 shown]
	v_add_co_u32 v40, s14, s12, v110
	global_load_b32 v6, v[0:1], off
	v_add_co_u32 v0, vcc_lo, v0, s10
	s_wait_alu 0xfffd
	v_add_co_ci_u32_e32 v1, vcc_lo, s11, v1, vcc_lo
	s_wait_alu 0xf1ff
	v_add_co_ci_u32_e64 v41, null, s13, 0, s14
	v_add_co_u32 v2, vcc_lo, v0, s10
	s_wait_alu 0xfffd
	v_add_co_ci_u32_e32 v3, vcc_lo, s11, v1, vcc_lo
	s_clause 0x1
	global_load_b32 v8, v[0:1], off
	global_load_b32 v9, v[2:3], off
	v_add_co_u32 v0, vcc_lo, v2, s10
	s_wait_alu 0xfffd
	v_add_co_ci_u32_e32 v1, vcc_lo, s11, v3, vcc_lo
	s_delay_alu instid0(VALU_DEP_2) | instskip(SKIP_1) | instid1(VALU_DEP_2)
	v_add_co_u32 v2, vcc_lo, v0, s10
	s_wait_alu 0xfffd
	v_add_co_ci_u32_e32 v3, vcc_lo, s11, v1, vcc_lo
	s_clause 0x1
	global_load_b32 v10, v[0:1], off
	global_load_b32 v11, v[2:3], off
	v_add_co_u32 v0, vcc_lo, v2, s10
	s_wait_alu 0xfffd
	v_add_co_ci_u32_e32 v1, vcc_lo, s11, v3, vcc_lo
	s_delay_alu instid0(VALU_DEP_2) | instskip(SKIP_1) | instid1(VALU_DEP_2)
	v_add_co_u32 v2, vcc_lo, v0, s10
	s_wait_alu 0xfffd
	v_add_co_ci_u32_e32 v3, vcc_lo, s11, v1, vcc_lo
	global_load_b32 v12, v[0:1], off
	v_add_co_u32 v0, vcc_lo, v2, s10
	s_wait_alu 0xfffd
	v_add_co_ci_u32_e32 v1, vcc_lo, s11, v3, vcc_lo
	global_load_b32 v13, v[2:3], off
	;; [unrolled: 4-line block ×5, first 2 shown]
	global_load_b32 v17, v[2:3], off
	v_add_co_u32 v0, vcc_lo, v2, s10
	s_wait_alu 0xfffd
	v_add_co_ci_u32_e32 v1, vcc_lo, s11, v3, vcc_lo
	global_load_b32 v18, v[0:1], off
	v_add_co_u32 v0, vcc_lo, v0, s10
	s_wait_alu 0xfffd
	v_add_co_ci_u32_e32 v1, vcc_lo, s11, v1, vcc_lo
	s_delay_alu instid0(VALU_DEP_2) | instskip(SKIP_1) | instid1(VALU_DEP_2)
	v_add_co_u32 v2, vcc_lo, v0, s10
	s_wait_alu 0xfffd
	v_add_co_ci_u32_e32 v3, vcc_lo, s11, v1, vcc_lo
	global_load_b32 v19, v[0:1], off
	global_load_b32 v20, v[2:3], off
	v_add_co_u32 v0, vcc_lo, v2, s10
	s_wait_alu 0xfffd
	v_add_co_ci_u32_e32 v1, vcc_lo, s11, v3, vcc_lo
	s_delay_alu instid0(VALU_DEP_2) | instskip(SKIP_1) | instid1(VALU_DEP_2)
	v_add_co_u32 v2, vcc_lo, v0, s10
	s_wait_alu 0xfffd
	v_add_co_ci_u32_e32 v3, vcc_lo, s11, v1, vcc_lo
	global_load_b32 v21, v[0:1], off
	v_add_co_u32 v0, vcc_lo, v2, s10
	s_wait_alu 0xfffd
	v_add_co_ci_u32_e32 v1, vcc_lo, s11, v3, vcc_lo
	global_load_b32 v22, v[2:3], off
	;; [unrolled: 4-line block ×5, first 2 shown]
	global_load_b32 v4, v[0:1], off
	v_cmp_gt_u16_e32 vcc_lo, 45, v7
	s_load_b128 s[4:7], s[6:7], 0x0
	s_wait_loadcnt 0x27
	v_lshrrev_b32_e32 v24, 16, v147
	s_wait_loadcnt 0x26
	v_lshrrev_b32_e32 v45, 16, v138
	;; [unrolled: 2-line block ×6, first 2 shown]
	v_lshrrev_b32_e32 v47, 16, v145
	s_wait_loadcnt 0x1a
	v_lshrrev_b32_e32 v43, 16, v137
	s_wait_loadcnt 0x18
	v_lshrrev_b32_e32 v44, 16, v140
	v_lshrrev_b32_e32 v39, 16, v135
	;; [unrolled: 1-line block ×5, first 2 shown]
	s_wait_loadcnt 0x16
	v_lshrrev_b32_e32 v27, 16, v132
	v_lshrrev_b32_e32 v33, 16, v121
	;; [unrolled: 1-line block ×5, first 2 shown]
	s_wait_loadcnt 0x13
	v_lshrrev_b32_e32 v5, 16, v6
	v_mul_f16_e32 v7, v24, v6
	v_lshrrev_b32_e32 v29, 16, v113
	v_lshrrev_b32_e32 v28, 16, v111
	s_delay_alu instid0(VALU_DEP_4) | instskip(NEXT) | instid1(VALU_DEP_4)
	v_mul_f16_e32 v24, v24, v5
	v_fma_f16 v5, v147, v5, -v7
	s_delay_alu instid0(VALU_DEP_2)
	v_fmac_f16_e64 v24, v147, v6
	s_wait_loadcnt 0x12
	v_lshrrev_b32_e32 v25, 16, v8
	v_mul_f16_e32 v26, v48, v8
	s_wait_loadcnt 0x11
	v_lshrrev_b32_e32 v7, 16, v9
	v_pack_b32_f16 v5, v24, v5
	v_mul_f16_e32 v6, v48, v25
	v_fma_f16 v25, v148, v25, -v26
	v_mul_f16_e32 v26, v47, v9
	s_delay_alu instid0(VALU_DEP_3) | instskip(SKIP_1) | instid1(VALU_DEP_3)
	v_fmac_f16_e64 v6, v148, v8
	v_mul_f16_e32 v8, v47, v7
	v_fma_f16 v7, v145, v7, -v26
	s_wait_loadcnt 0x10
	v_lshrrev_b32_e32 v24, 16, v10
	v_mul_f16_e32 v26, v46, v10
	v_pack_b32_f16 v6, v6, v25
	v_fmac_f16_e64 v8, v145, v9
	s_wait_loadcnt 0xf
	v_lshrrev_b32_e32 v25, 16, v11
	v_mul_f16_e32 v9, v46, v24
	v_fma_f16 v24, v143, v24, -v26
	v_mul_f16_e32 v26, v45, v11
	v_pack_b32_f16 v7, v8, v7
	v_mul_f16_e32 v8, v45, v25
	v_fmac_f16_e64 v9, v143, v10
	s_wait_loadcnt 0xe
	v_lshrrev_b32_e32 v10, 16, v12
	v_fma_f16 v25, v138, v25, -v26
	v_mul_f16_e32 v26, v44, v12
	v_fmac_f16_e64 v8, v138, v11
	v_pack_b32_f16 v9, v9, v24
	v_mul_f16_e32 v11, v44, v10
	s_wait_loadcnt 0xd
	v_lshrrev_b32_e32 v24, 16, v13
	v_fma_f16 v10, v140, v10, -v26
	v_mul_f16_e32 v26, v43, v13
	v_pack_b32_f16 v8, v8, v25
	v_fmac_f16_e64 v11, v140, v12
	v_mul_f16_e32 v12, v43, v24
	s_wait_loadcnt 0xc
	v_lshrrev_b32_e32 v25, 16, v14
	v_fma_f16 v24, v137, v24, -v26
	v_mul_f16_e32 v26, v39, v14
	v_pack_b32_f16 v10, v11, v10
	v_fmac_f16_e64 v12, v137, v13
	v_mul_f16_e32 v11, v39, v25
	s_wait_loadcnt 0xb
	v_lshrrev_b32_e32 v13, 16, v15
	v_fma_f16 v25, v135, v25, -v26
	v_mul_f16_e32 v26, v38, v15
	v_pack_b32_f16 v12, v12, v24
	v_fmac_f16_e64 v11, v135, v14
	v_mul_f16_e32 v14, v38, v13
	s_wait_loadcnt 0xa
	v_lshrrev_b32_e32 v24, 16, v16
	v_fma_f16 v13, v131, v13, -v26
	v_mul_f16_e32 v26, v27, v16
	v_pack_b32_f16 v11, v11, v25
	v_fmac_f16_e64 v14, v131, v15
	v_mul_f16_e32 v15, v27, v24
	s_wait_loadcnt 0x9
	v_lshrrev_b32_e32 v25, 16, v17
	v_mul_f16_e32 v27, v37, v17
	v_fma_f16 v24, v132, v24, -v26
	v_pack_b32_f16 v13, v14, v13
	v_fmac_f16_e64 v15, v132, v16
	v_mul_f16_e32 v14, v37, v25
	v_fma_f16 v16, v128, v25, -v27
	s_wait_loadcnt 0x8
	v_lshrrev_b32_e32 v25, 16, v18
	v_mul_f16_e32 v26, v36, v18
	ds_store_b32 v110, v6 offset:900
	ds_store_b32 v110, v7 offset:1800
	;; [unrolled: 1-line block ×8, first 2 shown]
	v_pack_b32_f16 v6, v15, v24
	v_fmac_f16_e64 v14, v128, v17
	v_mul_f16_e32 v7, v36, v25
	s_wait_loadcnt 0x7
	v_lshrrev_b32_e32 v9, 16, v19
	v_mul_f16_e32 v10, v35, v19
	v_fma_f16 v8, v126, v25, -v26
	ds_store_b32 v110, v6 offset:8100
	v_pack_b32_f16 v6, v14, v16
	v_fmac_f16_e32 v7, v126, v18
	v_mul_f16_e32 v11, v35, v9
	v_fma_f16 v9, v124, v9, -v10
	s_wait_loadcnt 0x6
	v_lshrrev_b32_e32 v10, 16, v20
	v_mul_f16_e32 v12, v34, v20
	ds_store_2addr_b32 v110, v5, v6 offset1:90
	v_pack_b32_f16 v5, v7, v8
	v_fmac_f16_e32 v11, v124, v19
	v_mul_f16_e32 v6, v34, v10
	s_wait_loadcnt 0x5
	v_lshrrev_b32_e32 v7, 16, v21
	v_mul_f16_e32 v8, v33, v21
	v_fma_f16 v10, v122, v10, -v12
	v_pack_b32_f16 v9, v11, v9
	v_fmac_f16_e32 v6, v122, v20
	v_mul_f16_e32 v11, v33, v7
	v_fma_f16 v7, v121, v7, -v8
	s_wait_loadcnt 0x4
	v_lshrrev_b32_e32 v8, 16, v22
	v_mul_f16_e32 v12, v32, v22
	v_pack_b32_f16 v6, v6, v10
	v_fmac_f16_e32 v11, v121, v21
	s_wait_loadcnt 0x3
	v_lshrrev_b32_e32 v10, 16, v23
	v_mul_f16_e32 v13, v32, v8
	v_fma_f16 v8, v119, v8, -v12
	v_mul_f16_e32 v12, v31, v23
	v_pack_b32_f16 v7, v11, v7
	v_mul_f16_e32 v11, v31, v10
	s_wait_loadcnt 0x2
	v_lshrrev_b32_e32 v14, 16, v2
	s_wait_loadcnt 0x1
	v_lshrrev_b32_e32 v15, 16, v3
	v_fma_f16 v10, v117, v10, -v12
	v_mul_f16_e32 v12, v30, v2
	s_wait_loadcnt 0x0
	v_lshrrev_b32_e32 v17, 16, v4
	v_mul_f16_e32 v16, v30, v14
	v_mul_f16_e32 v18, v29, v15
	;; [unrolled: 1-line block ×3, first 2 shown]
	v_fma_f16 v12, v115, v14, -v12
	v_mul_f16_e32 v14, v29, v3
	v_mul_f16_e32 v20, v28, v17
	v_fmac_f16_e32 v13, v119, v22
	v_fmac_f16_e32 v11, v117, v23
	;; [unrolled: 1-line block ×3, first 2 shown]
	v_fma_f16 v2, v113, v15, -v14
	v_fmac_f16_e32 v18, v113, v3
	v_fma_f16 v3, v111, v17, -v19
	v_fmac_f16_e32 v20, v111, v4
	v_pack_b32_f16 v4, v13, v8
	v_pack_b32_f16 v8, v11, v10
	;; [unrolled: 1-line block ×5, first 2 shown]
	ds_store_b32 v110, v5 offset:1260
	ds_store_b32 v110, v9 offset:2160
	;; [unrolled: 1-line block ×9, first 2 shown]
	s_and_saveexec_b32 s14, vcc_lo
	s_cbranch_execz .LBB0_3
; %bb.2:
	v_add_co_u32 v0, s2, v0, s2
	s_wait_alu 0xf1ff
	v_add_co_ci_u32_e64 v1, s2, s3, v1, s2
	v_add_nc_u32_e32 v22, 0x1080, v110
	s_delay_alu instid0(VALU_DEP_3) | instskip(SKIP_1) | instid1(VALU_DEP_3)
	v_add_co_u32 v2, s2, v0, s10
	s_wait_alu 0xf1ff
	v_add_co_ci_u32_e64 v3, s2, s11, v1, s2
	v_add_nc_u32_e32 v23, 0x1780, v110
	global_load_b32 v4, v[0:1], off
	global_load_b32 v5, v[2:3], off
	s_clause 0x8
	global_load_b32 v6, v[40:41], off offset:720
	global_load_b32 v7, v[40:41], off offset:1620
	;; [unrolled: 1-line block ×9, first 2 shown]
	v_add_co_u32 v0, s2, v2, s10
	s_wait_alu 0xf1ff
	v_add_co_ci_u32_e64 v1, s2, s11, v3, s2
	global_load_b32 v15, v[40:41], off offset:8820
	v_add_co_u32 v2, s2, v0, s10
	s_wait_alu 0xf1ff
	v_add_co_ci_u32_e64 v3, s2, s11, v1, s2
	global_load_b32 v16, v[0:1], off
	global_load_b32 v17, v[2:3], off
	v_add_co_u32 v0, s2, v2, s10
	s_wait_alu 0xf1ff
	v_add_co_ci_u32_e64 v1, s2, s11, v3, s2
	s_delay_alu instid0(VALU_DEP_2) | instskip(SKIP_1) | instid1(VALU_DEP_2)
	v_add_co_u32 v2, s2, v0, s10
	s_wait_alu 0xf1ff
	v_add_co_ci_u32_e64 v3, s2, s11, v1, s2
	global_load_b32 v18, v[0:1], off
	v_add_co_u32 v0, s2, v2, s10
	s_wait_alu 0xf1ff
	v_add_co_ci_u32_e64 v1, s2, s11, v3, s2
	global_load_b32 v19, v[2:3], off
	;; [unrolled: 4-line block ×5, first 2 shown]
	global_load_b32 v1, v[2:3], off
	v_add_nc_u32_e32 v2, 0x280, v110
	v_add_nc_u32_e32 v3, 0x980, v110
	s_wait_loadcnt 0x13
	v_lshrrev_b32_e32 v30, 16, v4
	s_wait_loadcnt 0x12
	v_lshrrev_b32_e32 v35, 16, v5
	;; [unrolled: 2-line block ×7, first 2 shown]
	v_mul_f16_e32 v34, v24, v4
	v_mul_f16_e32 v24, v24, v30
	;; [unrolled: 1-line block ×3, first 2 shown]
	s_wait_loadcnt 0xc
	v_lshrrev_b32_e32 v29, 16, v11
	s_wait_loadcnt 0xb
	v_lshrrev_b32_e32 v31, 16, v12
	v_fma_f16 v30, v6, v30, -v34
	v_fmac_f16_e32 v24, v6, v4
	v_mul_f16_e32 v4, v25, v35
	v_fma_f16 v25, v7, v35, -v37
	s_wait_loadcnt 0xa
	v_lshrrev_b32_e32 v32, 16, v13
	s_wait_loadcnt 0x9
	v_lshrrev_b32_e32 v33, 16, v14
	;; [unrolled: 2-line block ×3, first 2 shown]
	v_fmac_f16_e32 v4, v7, v5
	v_pack_b32_f16 v24, v24, v30
	s_wait_loadcnt 0x7
	v_lshrrev_b32_e32 v6, 16, v16
	v_mul_f16_e32 v34, v26, v16
	s_wait_loadcnt 0x6
	v_lshrrev_b32_e32 v7, 16, v17
	v_pack_b32_f16 v4, v4, v25
	v_mul_f16_e32 v5, v26, v6
	v_fma_f16 v6, v8, v6, -v34
	v_mul_f16_e32 v26, v27, v17
	s_delay_alu instid0(VALU_DEP_3)
	v_fmac_f16_e32 v5, v8, v16
	v_mul_f16_e32 v8, v27, v7
	s_wait_loadcnt 0x5
	v_lshrrev_b32_e32 v16, 16, v18
	v_mul_f16_e32 v25, v28, v18
	v_fma_f16 v7, v9, v7, -v26
	v_pack_b32_f16 v5, v5, v6
	v_fmac_f16_e32 v8, v9, v17
	v_mul_f16_e32 v6, v28, v16
	v_fma_f16 v9, v10, v16, -v25
	s_wait_loadcnt 0x4
	v_lshrrev_b32_e32 v16, 16, v19
	v_mul_f16_e32 v17, v29, v19
	v_pack_b32_f16 v7, v8, v7
	v_fmac_f16_e32 v6, v10, v18
	s_wait_loadcnt 0x3
	v_lshrrev_b32_e32 v8, 16, v20
	v_mul_f16_e32 v10, v29, v16
	v_fma_f16 v16, v11, v16, -v17
	v_mul_f16_e32 v17, v31, v20
	v_pack_b32_f16 v6, v6, v9
	v_mul_f16_e32 v9, v31, v8
	v_fmac_f16_e32 v10, v11, v19
	s_wait_loadcnt 0x2
	v_lshrrev_b32_e32 v11, 16, v21
	v_fma_f16 v8, v12, v8, -v17
	v_mul_f16_e32 v17, v32, v21
	v_fmac_f16_e32 v9, v12, v20
	s_wait_loadcnt 0x1
	v_lshrrev_b32_e32 v12, 16, v0
	s_wait_loadcnt 0x0
	v_lshrrev_b32_e32 v19, 16, v1
	v_mul_f16_e32 v18, v32, v11
	v_fma_f16 v11, v13, v11, -v17
	v_mul_f16_e32 v17, v33, v0
	v_mul_f16_e32 v20, v33, v12
	v_mul_f16_e32 v25, v36, v1
	v_mul_f16_e32 v26, v36, v19
	v_fmac_f16_e32 v18, v13, v21
	v_fma_f16 v12, v14, v12, -v17
	v_fmac_f16_e32 v20, v14, v0
	v_fma_f16 v0, v15, v19, -v25
	v_fmac_f16_e32 v26, v15, v1
	v_pack_b32_f16 v1, v10, v16
	v_pack_b32_f16 v8, v9, v8
	;; [unrolled: 1-line block ×5, first 2 shown]
	v_add_nc_u32_e32 v11, 0x1e80, v110
	ds_store_2addr_b32 v2, v24, v4 offset0:20 offset1:245
	ds_store_2addr_b32 v3, v5, v7 offset0:22 offset1:247
	ds_store_2addr_b32 v22, v6, v1 offset0:24 offset1:249
	ds_store_2addr_b32 v23, v8, v9 offset0:26 offset1:251
	ds_store_2addr_b32 v11, v10, v0 offset0:28 offset1:253
.LBB0_3:
	s_wait_alu 0xfffe
	s_or_b32 exec_lo, exec_lo, s14
	v_add_nc_u32_e32 v0, 0x200, v110
	v_add_nc_u32_e32 v1, 0x600, v110
	;; [unrolled: 1-line block ×4, first 2 shown]
	global_wb scope:SCOPE_SE
	s_wait_dscnt 0x0
	s_wait_kmcnt 0x0
	s_barrier_signal -1
	s_barrier_wait -1
	global_inv scope:SCOPE_SE
	ds_load_2addr_b32 v[28:29], v110 offset1:90
	ds_load_2addr_b32 v[24:25], v0 offset0:97 offset1:187
	ds_load_2addr_b32 v[26:27], v1 offset0:66 offset1:156
	;; [unrolled: 1-line block ×4, first 2 shown]
	v_add_nc_u32_e32 v2, 0x1000, v110
	v_add_nc_u32_e32 v3, 0x1400, v110
	;; [unrolled: 1-line block ×5, first 2 shown]
	ds_load_2addr_b32 v[10:11], v2 offset0:101 offset1:191
	ds_load_2addr_b32 v[6:7], v3 offset0:70 offset1:160
	;; [unrolled: 1-line block ×5, first 2 shown]
                                        ; implicit-def: $vgpr20
                                        ; implicit-def: $vgpr16
                                        ; implicit-def: $vgpr18
                                        ; implicit-def: $vgpr14
                                        ; implicit-def: $vgpr12
	s_and_saveexec_b32 s2, vcc_lo
	s_cbranch_execz .LBB0_5
; %bb.4:
	v_add_nc_u32_e32 v12, 0x280, v110
	v_add_nc_u32_e32 v13, 0x980, v110
	;; [unrolled: 1-line block ×5, first 2 shown]
	ds_load_2addr_b32 v[20:21], v12 offset0:20 offset1:245
	ds_load_2addr_b32 v[16:17], v13 offset0:22 offset1:247
	;; [unrolled: 1-line block ×5, first 2 shown]
.LBB0_5:
	s_wait_alu 0xfffe
	s_or_b32 exec_lo, exec_lo, s2
	s_wait_dscnt 0x3
	v_add_f16_e32 v30, v0, v6
	v_lshrrev_b32_e32 v31, 16, v26
	s_wait_dscnt 0x1
	v_lshrrev_b32_e32 v32, 16, v2
	v_lshrrev_b32_e32 v34, 16, v0
	;; [unrolled: 1-line block ×3, first 2 shown]
	v_fma_f16 v33, -0.5, v30, v28
	s_load_b64 s[2:3], s[0:1], 0x8
	v_sub_f16_e32 v30, v31, v32
	v_add_co_u32 v92, s0, 0x5a, v142
	v_sub_f16_e32 v37, v34, v35
	v_sub_f16_e32 v38, v2, v6
	s_delay_alu instid0(VALU_DEP_4)
	v_fmamk_f16 v36, v30, 0x3b9c, v33
	v_sub_f16_e32 v39, v26, v0
	v_fmac_f16_e32 v33, 0xbb9c, v30
	v_add_f16_e32 v44, v26, v2
	s_wait_alu 0xf1ff
	v_add_co_ci_u32_e64 v43, null, 0, 0, s0
	v_add_co_u32 v91, s0, 0xb4, v142
	s_wait_alu 0xf1ff
	v_add_co_ci_u32_e64 v45, null, 0, 0, s0
	v_fmac_f16_e32 v36, 0x38b4, v37
	v_add_f16_e32 v38, v39, v38
	v_fma_f16 v39, -0.5, v44, v28
	v_fmac_f16_e32 v33, 0xb8b4, v37
	v_add_f16_e32 v44, v34, v35
	v_lshrrev_b32_e32 v45, 16, v28
	v_pk_add_f16 v28, v28, v26
	v_fmamk_f16 v46, v37, 0xbb9c, v39
	v_fmac_f16_e32 v36, 0x34f2, v38
	v_fmac_f16_e32 v33, 0x34f2, v38
	v_fma_f16 v44, -0.5, v44, v45
	v_sub_f16_e32 v38, v26, v2
	v_sub_f16_e32 v47, v6, v2
	;; [unrolled: 1-line block ×3, first 2 shown]
	v_fmac_f16_e32 v39, 0x3b9c, v37
	v_fmac_f16_e32 v46, 0x38b4, v30
	v_fmamk_f16 v49, v38, 0xbb9c, v44
	v_sub_f16_e32 v37, v0, v6
	v_sub_f16_e32 v48, v31, v34
	v_sub_f16_e32 v50, v32, v35
	v_add_f16_e32 v26, v26, v47
	v_add_f16_e32 v47, v31, v32
	v_fmac_f16_e32 v39, 0xb8b4, v30
	v_fmac_f16_e32 v44, 0x3b9c, v38
	;; [unrolled: 1-line block ×3, first 2 shown]
	v_add_f16_e32 v30, v48, v50
	v_fmac_f16_e32 v45, -0.5, v47
	v_fmac_f16_e32 v46, 0x34f2, v26
	v_fmac_f16_e32 v39, 0x34f2, v26
	;; [unrolled: 1-line block ×3, first 2 shown]
	v_add_f16_e32 v26, v10, v8
	v_fmac_f16_e32 v49, 0x34f2, v30
	v_fmamk_f16 v50, v37, 0x3b9c, v45
	v_fmac_f16_e32 v45, 0xbb9c, v37
	v_fmac_f16_e32 v44, 0x34f2, v30
	v_sub_f16_e32 v30, v34, v31
	v_fma_f16 v31, -0.5, v26, v24
	v_sub_f16_e32 v26, v35, v32
	v_lshrrev_b32_e32 v47, 16, v22
	s_wait_dscnt 0x0
	v_lshrrev_b32_e32 v48, 16, v4
	v_fmac_f16_e32 v50, 0xb8b4, v38
	v_lshrrev_b32_e32 v51, 16, v10
	v_lshrrev_b32_e32 v52, 16, v8
	v_add_f16_e32 v35, v22, v4
	v_add_f16_e32 v26, v30, v26
	v_fmac_f16_e32 v45, 0x38b4, v38
	v_sub_f16_e32 v53, v4, v8
	v_sub_f16_e32 v54, v22, v10
	v_fma_f16 v30, -0.5, v35, v24
	v_fmac_f16_e32 v50, 0x34f2, v26
	v_fmac_f16_e32 v45, 0x34f2, v26
	v_pk_add_f16 v26, v24, v22
	v_add_f16_e32 v38, v51, v52
	v_lshrrev_b32_e32 v24, 16, v24
	v_add_f16_e32 v56, v47, v48
	v_sub_f16_e32 v34, v47, v48
	v_sub_f16_e32 v37, v51, v52
	v_add_f16_e32 v35, v54, v53
	v_sub_f16_e32 v54, v8, v4
	v_sub_f16_e32 v55, v10, v22
	v_fma_f16 v57, -0.5, v38, v24
	v_sub_f16_e32 v38, v10, v8
	v_fmac_f16_e32 v24, -0.5, v56
	v_fmamk_f16 v32, v34, 0x3b9c, v31
	v_fmamk_f16 v53, v37, 0xbb9c, v30
	v_fmac_f16_e32 v31, 0xbb9c, v34
	v_fmac_f16_e32 v30, 0x3b9c, v37
	v_sub_f16_e32 v22, v22, v4
	v_add_f16_e32 v54, v55, v54
	v_sub_f16_e32 v55, v47, v51
	v_fmamk_f16 v56, v38, 0x3b9c, v24
	v_sub_f16_e32 v47, v51, v47
	v_sub_f16_e32 v51, v52, v48
	v_fmac_f16_e32 v32, 0x38b4, v37
	v_fmac_f16_e32 v53, 0x38b4, v34
	;; [unrolled: 1-line block ×3, first 2 shown]
	v_fmamk_f16 v34, v22, 0xbb9c, v57
	v_sub_f16_e32 v48, v48, v52
	v_fmac_f16_e32 v24, 0xbb9c, v38
	v_fmac_f16_e32 v56, 0xb8b4, v22
	v_add_f16_e32 v47, v47, v51
	v_fmac_f16_e32 v57, 0x3b9c, v22
	v_fmac_f16_e32 v31, 0xb8b4, v37
	;; [unrolled: 1-line block ×4, first 2 shown]
	v_add_f16_e32 v48, v55, v48
	v_fmac_f16_e32 v24, 0x38b4, v22
	v_fmac_f16_e32 v30, 0x34f2, v54
	;; [unrolled: 1-line block ×8, first 2 shown]
	v_mul_f16_e32 v47, 0x3a79, v32
	v_mul_f16_e32 v51, 0x3b9c, v56
	;; [unrolled: 1-line block ×3, first 2 shown]
	v_fmac_f16_e32 v57, 0x34f2, v48
	v_mul_f16_e32 v35, 0x3a79, v31
	v_fmac_f16_e32 v47, 0x38b4, v34
	v_fmac_f16_e32 v51, 0x34f2, v53
	v_fma_f16 v54, v24, 0x3b9c, -v22
	v_mul_f16_e32 v32, 0xb8b4, v32
	v_mul_f16_e32 v55, 0xbb9c, v53
	;; [unrolled: 1-line block ×4, first 2 shown]
	v_fma_f16 v35, v57, 0x38b4, -v35
	v_add_f16_e32 v57, v1, v7
	v_lshrrev_b32_e32 v58, 16, v27
	v_lshrrev_b32_e32 v59, 16, v3
	v_add_f16_e32 v37, v36, v47
	v_add_f16_e32 v22, v46, v51
	v_fmac_f16_e32 v32, 0x3a79, v34
	v_fmac_f16_e32 v55, 0x34f2, v56
	v_fma_f16 v34, v30, 0xbb9c, -v24
	v_fma_f16 v56, v31, 0xb8b4, -v48
	v_add_f16_e32 v24, v33, v35
	v_sub_f16_e32 v36, v36, v47
	v_sub_f16_e32 v48, v46, v51
	;; [unrolled: 1-line block ×3, first 2 shown]
	v_fma_f16 v33, -0.5, v57, v29
	v_sub_f16_e32 v35, v58, v59
	v_lshrrev_b32_e32 v46, 16, v1
	v_lshrrev_b32_e32 v57, 16, v7
	v_add_f16_e32 v52, v49, v32
	v_add_f16_e32 v31, v50, v55
	;; [unrolled: 1-line block ×3, first 2 shown]
	v_sub_f16_e32 v51, v49, v32
	v_sub_f16_e32 v50, v50, v55
	;; [unrolled: 1-line block ×3, first 2 shown]
	v_fmamk_f16 v32, v35, 0x3b9c, v33
	v_sub_f16_e32 v34, v46, v57
	v_sub_f16_e32 v45, v3, v7
	;; [unrolled: 1-line block ×3, first 2 shown]
	v_fmac_f16_e32 v33, 0xbb9c, v35
	v_add_f16_e32 v38, v39, v54
	v_add_f16_e32 v30, v44, v56
	v_sub_f16_e32 v39, v39, v54
	v_add_f16_e32 v60, v27, v3
	v_sub_f16_e32 v54, v44, v56
	v_fmac_f16_e32 v32, 0x38b4, v34
	v_add_f16_e32 v44, v55, v45
	v_fmac_f16_e32 v33, 0xb8b4, v34
	v_add_f16_e32 v55, v46, v57
	v_lshrrev_b32_e32 v56, 16, v29
	v_fma_f16 v45, -0.5, v60, v29
	v_pk_add_f16 v29, v29, v27
	v_fmac_f16_e32 v32, 0x34f2, v44
	v_fmac_f16_e32 v33, 0x34f2, v44
	v_fma_f16 v44, -0.5, v55, v56
	v_sub_f16_e32 v55, v27, v3
	v_sub_f16_e32 v61, v7, v3
	;; [unrolled: 1-line block ×3, first 2 shown]
	v_fmamk_f16 v60, v34, 0xbb9c, v45
	v_fmac_f16_e32 v45, 0x3b9c, v34
	v_fmamk_f16 v34, v55, 0xbb9c, v44
	v_sub_f16_e32 v62, v1, v7
	v_add_f16_e32 v27, v27, v61
	v_add_f16_e32 v61, v58, v59
	v_sub_f16_e32 v63, v58, v46
	v_sub_f16_e32 v64, v59, v57
	v_fmac_f16_e32 v44, 0x3b9c, v55
	v_fmac_f16_e32 v60, 0x38b4, v35
	v_fmac_f16_e32 v56, -0.5, v61
	v_fmac_f16_e32 v45, 0xb8b4, v35
	v_fmac_f16_e32 v34, 0xb8b4, v62
	v_add_f16_e32 v35, v63, v64
	v_fmac_f16_e32 v44, 0x38b4, v62
	v_fmamk_f16 v63, v62, 0x3b9c, v56
	v_sub_f16_e32 v46, v46, v58
	v_sub_f16_e32 v57, v57, v59
	v_fmac_f16_e32 v56, 0xbb9c, v62
	v_fmac_f16_e32 v60, 0x34f2, v27
	;; [unrolled: 1-line block ×5, first 2 shown]
	v_add_f16_e32 v27, v11, v9
	v_lshrrev_b32_e32 v35, 16, v23
	v_lshrrev_b32_e32 v61, 16, v5
	;; [unrolled: 1-line block ×4, first 2 shown]
	v_fmac_f16_e32 v63, 0xb8b4, v55
	v_add_f16_e32 v46, v46, v57
	v_sub_f16_e32 v65, v5, v9
	v_sub_f16_e32 v66, v23, v11
	v_fmac_f16_e32 v56, 0x38b4, v55
	v_add_f16_e32 v55, v23, v5
	v_fma_f16 v27, -0.5, v27, v25
	v_sub_f16_e32 v62, v59, v64
	v_fmac_f16_e32 v63, 0x34f2, v46
	v_add_f16_e32 v65, v66, v65
	v_fmac_f16_e32 v56, 0x34f2, v46
	v_pk_add_f16 v66, v25, v23
	v_fma_f16 v46, -0.5, v55, v25
	v_add_f16_e32 v55, v59, v64
	v_lshrrev_b32_e32 v25, 16, v25
	v_add_f16_e32 v70, v35, v61
	v_sub_f16_e32 v58, v35, v61
	v_fmamk_f16 v67, v62, 0xbb9c, v46
	v_sub_f16_e32 v68, v9, v5
	v_sub_f16_e32 v69, v11, v23
	v_fma_f16 v55, -0.5, v55, v25
	v_sub_f16_e32 v71, v11, v9
	v_fmac_f16_e32 v25, -0.5, v70
	v_fmac_f16_e32 v46, 0x3b9c, v62
	v_fmamk_f16 v57, v58, 0x3b9c, v27
	v_sub_f16_e32 v23, v23, v5
	v_add_f16_e32 v68, v69, v68
	v_sub_f16_e32 v70, v35, v59
	v_fmamk_f16 v73, v71, 0x3b9c, v25
	v_sub_f16_e32 v35, v59, v35
	v_sub_f16_e32 v59, v64, v61
	v_fmac_f16_e32 v25, 0xbb9c, v71
	v_fmac_f16_e32 v46, 0xb8b4, v58
	;; [unrolled: 1-line block ×4, first 2 shown]
	v_fmamk_f16 v69, v23, 0xbb9c, v55
	v_sub_f16_e32 v72, v61, v64
	v_fmac_f16_e32 v73, 0xb8b4, v23
	v_add_f16_e32 v35, v35, v59
	v_fmac_f16_e32 v25, 0x38b4, v23
	v_fmac_f16_e32 v46, 0x34f2, v68
	;; [unrolled: 1-line block ×6, first 2 shown]
	v_add_f16_e32 v61, v70, v72
	v_fmac_f16_e32 v73, 0x34f2, v35
	v_fmac_f16_e32 v55, 0x3b9c, v23
	;; [unrolled: 1-line block ×3, first 2 shown]
	v_mul_f16_e32 v35, 0x34f2, v46
	v_fmac_f16_e32 v67, 0x34f2, v68
	v_fmac_f16_e32 v69, 0x34f2, v61
	v_mul_f16_e32 v23, 0x3a79, v57
	v_mul_f16_e32 v58, 0x3b9c, v73
	v_fmac_f16_e32 v55, 0x38b4, v71
	v_fmac_f16_e32 v27, 0x34f2, v65
	v_fma_f16 v35, v25, 0x3b9c, -v35
	v_mul_f16_e32 v25, 0x34f2, v25
	v_fmac_f16_e32 v23, 0x38b4, v69
	v_fmac_f16_e32 v58, 0x34f2, v67
	;; [unrolled: 1-line block ×3, first 2 shown]
	v_mul_f16_e32 v62, 0x3a79, v27
	v_mul_f16_e32 v57, 0xb8b4, v57
	;; [unrolled: 1-line block ×3, first 2 shown]
	v_fma_f16 v25, v46, 0xbb9c, -v25
	v_add_f16_e32 v46, v18, v14
	v_lshrrev_b32_e32 v71, 16, v16
	v_lshrrev_b32_e32 v72, 16, v12
	v_add_f16_e32 v59, v32, v23
	v_add_f16_e32 v61, v60, v58
	v_fma_f16 v62, v55, 0x38b4, -v62
	v_fmac_f16_e32 v57, 0x3a79, v69
	v_fmac_f16_e32 v64, 0x34f2, v73
	v_mul_f16_e32 v55, 0x3a79, v55
	v_sub_f16_e32 v74, v32, v23
	v_sub_f16_e32 v60, v60, v58
	v_fma_f16 v46, -0.5, v46, v20
	v_sub_f16_e32 v32, v71, v72
	v_lshrrev_b32_e32 v58, 16, v18
	v_lshrrev_b32_e32 v75, 16, v14
	v_add_f16_e32 v65, v45, v35
	v_add_f16_e32 v67, v33, v62
	;; [unrolled: 1-line block ×4, first 2 shown]
	v_fma_f16 v27, v27, 0xb8b4, -v55
	v_add_f16_e32 v70, v56, v25
	v_sub_f16_e32 v76, v45, v35
	v_sub_f16_e32 v62, v33, v62
	;; [unrolled: 1-line block ×3, first 2 shown]
	v_fmamk_f16 v23, v32, 0x3b9c, v46
	v_sub_f16_e32 v33, v58, v75
	v_sub_f16_e32 v34, v12, v14
	;; [unrolled: 1-line block ×5, first 2 shown]
	v_add_f16_e32 v25, v16, v12
	v_fmac_f16_e32 v46, 0xbb9c, v32
	v_add_f16_e32 v73, v44, v27
	v_fmac_f16_e32 v23, 0x38b4, v33
	v_add_f16_e32 v34, v35, v34
	v_sub_f16_e32 v78, v44, v27
	v_fma_f16 v25, -0.5, v25, v20
	v_add_f16_e32 v44, v58, v75
	v_lshrrev_b32_e32 v27, 16, v20
	v_fmac_f16_e32 v46, 0xb8b4, v33
	v_sub_f16_e32 v45, v14, v12
	v_sub_f16_e32 v55, v18, v16
	v_pk_add_f16 v35, v20, v16
	v_fmac_f16_e32 v23, 0x34f2, v34
	v_fmamk_f16 v20, v33, 0xbb9c, v25
	v_fma_f16 v57, -0.5, v44, v27
	v_sub_f16_e32 v44, v16, v12
	v_fmac_f16_e32 v46, 0x34f2, v34
	v_add_f16_e32 v34, v55, v45
	v_fmac_f16_e32 v25, 0x3b9c, v33
	v_sub_f16_e32 v55, v71, v58
	v_sub_f16_e32 v56, v72, v75
	v_fmac_f16_e32 v20, 0x38b4, v32
	v_fmamk_f16 v16, v44, 0xbb9c, v57
	v_add_f16_e32 v33, v71, v72
	v_sub_f16_e32 v45, v18, v14
	v_fmac_f16_e32 v57, 0x3b9c, v44
	v_fmac_f16_e32 v25, 0xb8b4, v32
	v_add_f16_e32 v32, v55, v56
	v_sub_f16_e32 v56, v58, v71
	v_sub_f16_e32 v58, v75, v72
	v_fmac_f16_e32 v27, -0.5, v33
	v_fmac_f16_e32 v16, 0xb8b4, v45
	v_fmac_f16_e32 v57, 0x38b4, v45
	v_lshrrev_b32_e32 v71, 16, v19
	v_lshrrev_b32_e32 v72, 16, v15
	v_add_f16_e32 v56, v56, v58
	v_add_f16_e32 v58, v17, v13
	v_fmamk_f16 v55, v45, 0x3b9c, v27
	v_fmac_f16_e32 v20, 0x34f2, v34
	v_fmac_f16_e32 v25, 0x34f2, v34
	;; [unrolled: 1-line block ×4, first 2 shown]
	v_add_f16_e32 v32, v19, v15
	v_lshrrev_b32_e32 v33, 16, v17
	v_lshrrev_b32_e32 v34, 16, v13
	v_fmac_f16_e32 v27, 0xbb9c, v45
	v_sub_f16_e32 v75, v71, v72
	v_fma_f16 v58, -0.5, v58, v21
	v_fmac_f16_e32 v55, 0xb8b4, v44
	v_fma_f16 v32, -0.5, v32, v21
	v_sub_f16_e32 v45, v33, v34
	v_fmac_f16_e32 v27, 0x38b4, v44
	v_fmamk_f16 v81, v75, 0xbb9c, v58
	v_fmac_f16_e32 v58, 0x3b9c, v75
	v_pk_add_f16 v18, v35, v18
	v_fmamk_f16 v44, v45, 0x3b9c, v32
	v_fmac_f16_e32 v55, 0x34f2, v56
	v_fmac_f16_e32 v27, 0x34f2, v56
	v_pk_add_f16 v56, v21, v17
	v_fmac_f16_e32 v32, 0xbb9c, v45
	v_sub_f16_e32 v82, v15, v13
	v_sub_f16_e32 v83, v19, v17
	v_fmac_f16_e32 v81, 0x38b4, v45
	v_fmac_f16_e32 v58, 0xb8b4, v45
	v_add_f16_e32 v35, v71, v72
	v_lshrrev_b32_e32 v45, 16, v21
	v_pk_add_f16 v14, v18, v14
	v_add_f16_e32 v18, v33, v34
	v_fmac_f16_e32 v44, 0x38b4, v75
	v_sub_f16_e32 v80, v17, v19
	v_fmac_f16_e32 v32, 0xb8b4, v75
	v_add_f16_e32 v75, v83, v82
	v_pk_add_f16 v21, v56, v19
	v_fma_f16 v35, -0.5, v35, v45
	v_sub_f16_e32 v17, v17, v13
	v_sub_f16_e32 v19, v19, v15
	v_fmac_f16_e32 v45, -0.5, v18
	v_sub_f16_e32 v79, v13, v15
	v_fmac_f16_e32 v81, 0x34f2, v75
	v_fmac_f16_e32 v58, 0x34f2, v75
	v_pk_add_f16 v14, v14, v12
	v_pk_add_f16 v12, v21, v15
	v_fmamk_f16 v56, v17, 0xbb9c, v35
	v_sub_f16_e32 v15, v33, v71
	v_fmamk_f16 v75, v19, 0x3b9c, v45
	v_sub_f16_e32 v18, v71, v33
	v_sub_f16_e32 v21, v72, v34
	v_sub_f16_e32 v33, v34, v72
	v_fmac_f16_e32 v45, 0xbb9c, v19
	v_fmac_f16_e32 v35, 0x3b9c, v17
	v_add_f16_e32 v79, v80, v79
	v_add_f16_e32 v18, v18, v21
	;; [unrolled: 1-line block ×3, first 2 shown]
	v_fmac_f16_e32 v45, 0x38b4, v17
	v_fmac_f16_e32 v35, 0x38b4, v19
	;; [unrolled: 1-line block ×4, first 2 shown]
	v_pk_add_f16 v13, v12, v13
	v_fmac_f16_e32 v45, 0x34f2, v18
	v_mul_f16_e32 v12, 0x34f2, v58
	v_fmac_f16_e32 v35, 0x34f2, v21
	v_pk_add_f16 v0, v28, v0
	v_pk_add_f16 v10, v26, v10
	v_fmac_f16_e32 v44, 0x34f2, v79
	v_fmac_f16_e32 v56, 0xb8b4, v19
	v_fmac_f16_e32 v75, 0x34f2, v18
	v_mul_f16_e32 v19, 0x3a79, v32
	v_fma_f16 v18, v45, 0x3b9c, -v12
	v_mul_f16_e32 v12, 0x3a79, v35
	v_mul_lo_u16 v26, v142, 10
	v_pk_add_f16 v0, v0, v6
	v_pk_add_f16 v6, v10, v8
	v_fmac_f16_e32 v56, 0x34f2, v21
	v_mul_f16_e32 v15, 0x3a79, v44
	v_fma_f16 v35, v35, 0x38b4, -v19
	v_mul_f16_e32 v19, 0xb8b4, v44
	v_mul_f16_e32 v33, 0x34f2, v45
	v_fma_f16 v71, v32, 0xb8b4, -v12
	v_and_b32_e32 v8, 0xffff, v26
	v_pk_add_f16 v0, v0, v2
	v_pk_add_f16 v4, v6, v4
	;; [unrolled: 1-line block ×4, first 2 shown]
	v_mul_f16_e32 v17, 0x3b9c, v75
	v_fmac_f16_e32 v15, 0x38b4, v56
	v_mul_f16_e32 v21, 0xbb9c, v81
	v_fmac_f16_e32 v19, 0x3a79, v56
	v_fma_f16 v56, v58, 0xbb9c, -v33
	v_add_f16_e32 v33, v57, v71
	v_sub_f16_e64 v163, v57, v71
	v_lshlrev_b32_e32 v167, 2, v8
	v_pk_add_f16 v57, v0, v4
	v_pk_add_f16 v8, v0, v4 neg_lo:[0,1] neg_hi:[0,1]
	v_pk_add_f16 v0, v6, v7
	v_pk_add_f16 v4, v11, v9
	v_fmac_f16_e32 v17, 0x34f2, v81
	v_fmac_f16_e32 v21, 0x34f2, v75
	v_pack_b32_f16 v58, v37, v52
	v_pack_b32_f16 v2, v38, v53
	;; [unrolled: 1-line block ×3, first 2 shown]
	v_mul_u32_u24_e32 v6, 10, v92
	v_pk_add_f16 v9, v0, v3
	v_pk_add_f16 v22, v4, v5
	v_pack_b32_f16 v10, v36, v51
	v_pack_b32_f16 v11, v48, v50
	;; [unrolled: 1-line block ×3, first 2 shown]
	v_add_f16_e32 v32, v46, v35
	v_sub_f16_e32 v34, v23, v15
	v_sub_f16_e32 v44, v20, v17
	;; [unrolled: 1-line block ×4, first 2 shown]
	v_pk_add_f16 v12, v14, v13 neg_lo:[0,1] neg_hi:[0,1]
	v_sub_f16_e32 v35, v16, v19
	v_sub_f16_e64 v162, v55, v21
	v_sub_f16_e64 v164, v27, v56
	global_wb scope:SCOPE_SE
	s_wait_kmcnt 0x0
	s_barrier_signal -1
	s_barrier_wait -1
	global_inv scope:SCOPE_SE
	ds_store_2addr_b64 v167, v[57:58], v[1:2] offset1:1
	ds_store_2addr_b64 v167, v[7:8], v[10:11] offset0:2 offset1:3
	v_pack_b32_f16 v1, v47, v54
	v_pack_b32_f16 v0, v39, v49
	v_lshlrev_b32_e32 v165, 2, v6
	v_pk_add_f16 v2, v9, v22
	v_pk_add_f16 v7, v9, v22 neg_lo:[0,1] neg_hi:[0,1]
	v_mul_u32_u24_e32 v22, 10, v91
	v_pack_b32_f16 v3, v59, v68
	v_pack_b32_f16 v5, v65, v70
	;; [unrolled: 1-line block ×8, first 2 shown]
	scratch_store_b32 off, v22, off offset:40 ; 4-byte Folded Spill
	ds_store_b64 v167, v[0:1] offset:32
	ds_store_2addr_b64 v165, v[2:3], v[4:5] offset1:1
	ds_store_2addr_b64 v165, v[6:7], v[8:9] offset0:2 offset1:3
	ds_store_b64 v165, v[10:11] offset:32
	s_and_saveexec_b32 s0, vcc_lo
	s_cbranch_execz .LBB0_7
; %bb.6:
	v_add_f16_e32 v1, v27, v56
	v_add_f16_e32 v2, v55, v21
	;; [unrolled: 1-line block ×6, first 2 shown]
	v_mul_u32_u24_e32 v0, 10, v91
	v_perm_b32 v11, v33, v32, 0x5040100
	v_pack_b32_f16 v3, v3, v1
	v_pack_b32_f16 v2, v5, v2
	;; [unrolled: 1-line block ×3, first 2 shown]
	v_lshlrev_b32_e32 v8, 2, v0
	v_pk_add_f16 v0, v14, v13
	v_perm_b32 v5, v162, v44, 0x5040100
	v_perm_b32 v4, v35, v34, 0x5040100
	;; [unrolled: 1-line block ×4, first 2 shown]
	ds_store_2addr_b64 v8, v[0:1], v[2:3] offset1:1
	ds_store_2addr_b64 v8, v[11:12], v[4:5] offset0:2 offset1:3
	ds_store_b64 v8, v[6:7] offset:32
.LBB0_7:
	s_wait_alu 0xfffe
	s_or_b32 exec_lo, exec_lo, s0
	v_add_nc_u32_e32 v0, 0xa00, v110
	global_wb scope:SCOPE_SE
	s_wait_storecnt_dscnt 0x0
	s_barrier_signal -1
	s_barrier_wait -1
	global_inv scope:SCOPE_SE
	ds_load_2addr_b32 v[6:7], v110 offset1:90
	ds_load_2addr_b32 v[21:22], v0 offset0:110 offset1:200
	v_add_nc_u32_e32 v0, 0x1600, v110
	v_add_nc_u32_e32 v1, 0x200, v110
	;; [unrolled: 1-line block ×5, first 2 shown]
	ds_load_2addr_b32 v[23:24], v0 offset0:92 offset1:182
	ds_load_2addr_b32 v[2:3], v1 offset0:52 offset1:142
	ds_load_2addr_b32 v[13:14], v4 offset0:162 offset1:252
	ds_load_2addr_b32 v[15:16], v5 offset0:144 offset1:234
	ds_load_2addr_b32 v[0:1], v8 offset0:104 offset1:194
	v_add_nc_u32_e32 v4, 0x1000, v110
	v_add_nc_u32_e32 v5, 0x1c00, v110
	;; [unrolled: 1-line block ×5, first 2 shown]
	ds_load_2addr_b32 v[19:20], v4 offset0:86 offset1:176
	ds_load_2addr_b32 v[17:18], v5 offset0:68 offset1:158
	;; [unrolled: 1-line block ×5, first 2 shown]
	v_cmp_gt_u16_e64 s0, 30, v142
	s_delay_alu instid0(VALU_DEP_1)
	s_and_saveexec_b32 s1, s0
	s_cbranch_execz .LBB0_9
; %bb.8:
	ds_load_b32 v32, v110 offset:2880
	ds_load_b32 v34, v110 offset:8880
	;; [unrolled: 1-line block ×3, first 2 shown]
	s_wait_dscnt 0x2
	v_lshrrev_b32_e32 v33, 16, v32
	s_wait_dscnt 0x1
	v_lshrrev_b32_e32 v35, 16, v34
.LBB0_9:
	s_wait_alu 0xfffe
	s_or_b32 exec_lo, exec_lo, s1
	v_add_co_u32 v28, s1, 0x10e, v142
	v_and_b32_e32 v25, 0xffff, v91
	v_and_b32_e32 v27, 0xff, v142
	;; [unrolled: 1-line block ×3, first 2 shown]
	s_delay_alu instid0(VALU_DEP_4)
	v_and_b32_e32 v26, 0xffff, v28
	s_wait_alu 0xf1ff
	v_add_co_ci_u32_e64 v29, null, 0, 0, s1
	v_mul_u32_u24_e32 v30, 0xcccd, v25
	v_mul_lo_u16 v27, 0xcd, v27
	v_mul_u32_u24_e32 v31, 0xcccd, v26
	v_mul_lo_u16 v37, 0xcd, v36
	v_add_nc_u16 v66, v142, 0x1c2
	v_lshrrev_b32_e32 v38, 19, v30
	v_lshrrev_b16 v69, 11, v27
	v_lshrrev_b32_e32 v39, 19, v31
	v_lshrrev_b16 v37, 11, v37
	v_add_co_u32 v65, null, 0x21c, v142
	v_mul_lo_u16 v27, v38, 10
	s_delay_alu instid0(VALU_DEP_4)
	v_mul_lo_u16 v30, v39, 10
	v_mul_lo_u16 v47, v69, 10
	;; [unrolled: 1-line block ×3, first 2 shown]
	v_add_nc_u16 v67, v142, 0x276
	v_sub_nc_u16 v70, v91, v27
	v_sub_nc_u16 v71, v28, v30
	;; [unrolled: 1-line block ×4, first 2 shown]
	v_add_co_u32 v30, s1, 0x168, v142
	v_lshlrev_b16 v48, 1, v70
	v_lshlrev_b16 v49, 1, v71
	v_and_b32_e32 v72, 0xff, v27
	v_and_b32_e32 v73, 0xff, v47
	v_add_nc_u16 v68, v142, 0x2d0
	v_and_b32_e32 v27, 0xffff, v48
	v_and_b32_e32 v47, 0xffff, v49
	v_lshlrev_b32_e32 v48, 3, v72
	v_lshlrev_b32_e32 v49, 3, v73
	v_and_b32_e32 v54, 0xffff, v67
	v_lshlrev_b32_e32 v50, 2, v27
	v_lshlrev_b32_e32 v47, 2, v47
	v_and_b32_e32 v27, 0xffff, v30
	s_clause 0x3
	global_load_b64 v[59:60], v48, s[2:3]
	global_load_b64 v[55:56], v49, s[2:3]
	;; [unrolled: 1-line block ×4, first 2 shown]
	v_and_b32_e32 v49, 0xffff, v66
	v_and_b32_e32 v50, 0xffff, v65
	;; [unrolled: 1-line block ×3, first 2 shown]
	v_mul_u32_u24_e32 v53, 0xcccd, v27
	v_and_b32_e32 v69, 0xffff, v69
	v_mul_u32_u24_e32 v49, 0xcccd, v49
	v_mul_u32_u24_e32 v50, 0xcccd, v50
	v_and_b32_e32 v37, 0xffff, v37
	v_lshrrev_b32_e32 v74, 19, v53
	v_mul_u32_u24_e32 v53, 0xcccd, v54
	v_lshrrev_b32_e32 v75, 19, v49
	v_mul_u32_u24_e32 v49, 0xcccd, v57
	v_lshrrev_b32_e32 v76, 19, v50
	v_mul_lo_u16 v50, v74, 10
	v_lshrrev_b32_e32 v77, 19, v53
	v_mul_lo_u16 v53, v75, 10
	;; [unrolled: 2-line block ×3, first 2 shown]
	v_sub_nc_u16 v79, v30, v50
	v_mul_lo_u16 v50, v77, 10
	v_sub_nc_u16 v80, v66, v53
	v_mul_lo_u16 v53, v78, 10
	v_sub_nc_u16 v81, v65, v49
	v_lshlrev_b16 v49, 1, v79
	v_sub_nc_u16 v82, v67, v50
	v_lshlrev_b16 v50, 1, v80
	v_sub_nc_u16 v83, v68, v53
	v_lshlrev_b16 v53, 1, v81
	v_and_b32_e32 v49, 0xffff, v49
	v_lshlrev_b16 v54, 1, v82
	v_and_b32_e32 v50, 0xffff, v50
	v_lshlrev_b16 v57, 1, v83
	v_and_b32_e32 v53, 0xffff, v53
	v_lshlrev_b32_e32 v49, 2, v49
	v_and_b32_e32 v54, 0xffff, v54
	v_lshlrev_b32_e32 v50, 2, v50
	;; [unrolled: 2-line block ×3, first 2 shown]
	global_load_b64 v[63:64], v49, s[2:3]
	v_mul_u32_u24_e32 v69, 30, v69
	global_load_b64 v[61:62], v50, s[2:3]
	v_lshlrev_b32_e32 v49, 2, v54
	v_lshlrev_b32_e32 v50, 2, v57
	s_clause 0x2
	global_load_b64 v[57:58], v53, s[2:3]
	global_load_b64 v[53:54], v49, s[2:3]
	;; [unrolled: 1-line block ×3, first 2 shown]
	v_mul_u32_u24_e32 v37, 30, v37
	v_mad_u16 v38, v38, 30, v70
	v_add_lshl_u32 v153, v69, v72, 2
	v_mad_u16 v69, v75, 30, v80
	v_mad_u16 v72, v77, 30, v82
	v_add_lshl_u32 v152, v37, v73, 2
	v_and_b32_e32 v37, 0xffff, v38
	v_mad_u16 v38, v39, 30, v71
	v_mad_u16 v39, v74, 30, v79
	;; [unrolled: 1-line block ×3, first 2 shown]
	s_wait_dscnt 0xa
	v_lshrrev_b32_e32 v85, 16, v21
	s_wait_dscnt 0x9
	v_lshrrev_b32_e32 v86, 16, v23
	v_lshrrev_b32_e32 v88, 16, v22
	;; [unrolled: 1-line block ×3, first 2 shown]
	v_mad_u16 v73, v78, 30, v83
	v_lshlrev_b32_e32 v154, 2, v37
	v_and_b32_e32 v37, 0xffff, v38
	v_and_b32_e32 v38, 0xffff, v39
	;; [unrolled: 1-line block ×5, first 2 shown]
	s_wait_dscnt 0x7
	v_lshrrev_b32_e32 v93, 16, v13
	s_wait_dscnt 0x6
	v_lshrrev_b32_e32 v94, 16, v15
	scratch_store_b32 off, v73, off         ; 4-byte Folded Spill
	v_lshlrev_b32_e32 v151, 2, v37
	v_lshlrev_b32_e32 v150, 2, v38
	;; [unrolled: 1-line block ×5, first 2 shown]
	v_lshrrev_b32_e32 v84, 16, v6
	v_lshrrev_b32_e32 v87, 16, v7
	;; [unrolled: 1-line block ×4, first 2 shown]
	s_wait_dscnt 0x4
	v_lshrrev_b32_e32 v99, 16, v19
	s_wait_dscnt 0x3
	v_lshrrev_b32_e32 v100, 16, v17
	v_lshrrev_b32_e32 v102, 16, v20
	;; [unrolled: 1-line block ×3, first 2 shown]
	s_wait_dscnt 0x1
	v_lshrrev_b32_e32 v105, 16, v10
	s_wait_dscnt 0x0
	v_lshrrev_b32_e32 v106, 16, v8
	v_lshrrev_b32_e32 v108, 16, v11
	;; [unrolled: 1-line block ×10, first 2 shown]
	global_wb scope:SCOPE_SE
	s_wait_loadcnt 0x0
	s_wait_storecnt 0x0
	s_barrier_signal -1
	s_barrier_wait -1
	global_inv scope:SCOPE_SE
	scratch_store_b32 off, v153, off offset:28 ; 4-byte Folded Spill
	s_wait_alu 0xf1ff
	v_add_co_ci_u32_e64 v31, null, 0, 0, s1
	v_lshrrev_b32_e32 v185, 16, v59
	v_lshrrev_b32_e32 v184, 16, v60
	;; [unrolled: 1-line block ×5, first 2 shown]
	v_mul_f16_e64 v37, v85, v185
	v_mul_f16_e64 v38, v21, v185
	;; [unrolled: 1-line block ×8, first 2 shown]
	v_lshrrev_b32_e32 v75, 16, v52
	v_fma_f16 v21, v21, v59, -v37
	v_fmac_f16_e32 v38, v85, v59
	v_fma_f16 v23, v23, v60, -v39
	v_fmac_f16_e32 v69, v86, v60
	;; [unrolled: 2-line block ×4, first 2 shown]
	v_mul_f16_e64 v37, v93, v181
	v_mul_f16_e64 v39, v13, v181
	v_mul_f16_e32 v71, v94, v75
	v_mul_f16_e32 v73, v15, v75
	v_lshrrev_b32_e32 v180, 16, v47
	v_lshrrev_b32_e32 v78, 16, v48
	v_fma_f16 v37, v13, v51, -v37
	v_fmac_f16_e32 v39, v93, v51
	v_fma_f16 v71, v15, v52, -v71
	v_fmac_f16_e32 v73, v94, v52
	v_mul_f16_e64 v75, v95, v180
	v_mul_f16_e64 v76, v14, v180
	v_mul_f16_e32 v77, v96, v78
	v_mul_f16_e32 v78, v16, v78
	v_sub_f16_e64 v130, v38, v69
	v_add_f16_e64 v133, v84, v38
	v_add_f16_e32 v38, v38, v69
	v_sub_f16_e64 v139, v72, v74
	v_add_f16_e64 v141, v87, v72
	v_add_f16_e32 v72, v72, v74
	v_lshrrev_b32_e32 v80, 16, v63
	v_lshrrev_b32_e32 v82, 16, v64
	;; [unrolled: 1-line block ×4, first 2 shown]
	v_add_f16_e64 v129, v21, v23
	v_lshrrev_b32_e32 v114, 16, v57
	v_lshrrev_b32_e32 v112, 16, v58
	;; [unrolled: 1-line block ×6, first 2 shown]
	v_mul_f16_e32 v79, v99, v80
	v_mul_f16_e32 v80, v19, v80
	;; [unrolled: 1-line block ×20, first 2 shown]
	v_add_f16_e32 v127, v6, v21
	v_add_f16_e64 v136, v22, v24
	v_sub_f16_e32 v21, v21, v23
	v_add_f16_e64 v134, v7, v22
	v_sub_f16_e32 v22, v22, v24
	v_fma_f16 v14, v14, v47, -v75
	v_fma_f16 v16, v16, v48, -v77
	;; [unrolled: 1-line block ×4, first 2 shown]
	v_fmac_f16_e32 v76, v95, v47
	v_fmac_f16_e32 v78, v96, v48
	;; [unrolled: 1-line block ×3, first 2 shown]
	v_fma_f16 v17, v17, v64, -v81
	v_fmac_f16_e32 v82, v100, v64
	v_fmac_f16_e32 v85, v102, v61
	v_fma_f16 v18, v18, v62, -v86
	v_fmac_f16_e32 v88, v103, v62
	v_fma_f16 v10, v10, v57, -v89
	;; [unrolled: 2-line block ×6, first 2 shown]
	v_fmac_f16_e32 v13, v35, v50
	v_add_f16_e32 v12, v127, v23
	v_add_f16_e64 v23, v133, v69
	v_fmac_f16_e32 v84, -0.5, v38
	v_fmac_f16_e32 v87, -0.5, v72
	v_add_f16_e32 v35, v2, v37
	v_add_f16_e32 v38, v37, v71
	v_sub_f16_e32 v69, v39, v73
	v_add_f16_e32 v70, v90, v39
	v_add_f16_e32 v39, v39, v73
	v_fma_f16 v6, -0.5, v129, v6
	v_fmac_f16_e64 v7, -0.5, v136
	v_fmac_f16_e32 v15, v109, v49
	v_fma_f16 v8, v34, v50, -v125
	v_add_f16_e64 v24, v134, v24
	v_add_f16_e64 v34, v141, v74
	v_sub_f16_e32 v37, v37, v71
	v_fmamk_f16 v79, v22, 0xbaee, v87
	v_fmac_f16_e32 v87, 0x3aee, v22
	v_add_f16_e32 v22, v35, v71
	v_fma_f16 v2, -0.5, v38, v2
	v_add_f16_e32 v35, v70, v73
	v_fmac_f16_e32 v90, -0.5, v39
	v_add_f16_e32 v39, v14, v16
	v_add_f16_e32 v73, v76, v78
	v_add_f16_e32 v81, v19, v17
	v_sub_f16_e32 v83, v80, v82
	v_add_f16_e32 v86, v98, v80
	v_add_f16_e32 v80, v80, v82
	v_add_f16_e32 v94, v20, v18
	v_sub_f16_e32 v95, v85, v88
	;; [unrolled: 4-line block ×3, first 2 shown]
	v_add_f16_e32 v103, v104, v93
	v_add_f16_e32 v93, v93, v112
	v_add_f16_e32 v106, v11, v77
	v_add_f16_e32 v114, v116, v120
	v_fma_f16 v72, 0x3aee, v130, v6
	v_fmac_f16_e64 v6, 0xbaee, v130
	v_fmamk_f16 v74, v21, 0xbaee, v84
	v_fmac_f16_e32 v84, 0x3aee, v21
	v_fma_f16 v21, 0x3aee, v139, v7
	v_fmac_f16_e64 v7, 0xbaee, v139
	v_add_f16_e32 v38, v3, v14
	v_sub_f16_e32 v70, v76, v78
	v_add_f16_e32 v71, v97, v76
	v_sub_f16_e32 v14, v14, v16
	;; [unrolled: 2-line block ×7, first 2 shown]
	v_add_f16_e32 v116, v9, v8
	v_add_f16_e32 v123, v15, v13
	v_pack_b32_f16 v12, v12, v23
	v_pack_b32_f16 v23, v24, v34
	v_fmamk_f16 v24, v69, 0x3aee, v2
	v_fmac_f16_e32 v2, 0xbaee, v69
	v_fmamk_f16 v34, v37, 0xbaee, v90
	v_fmac_f16_e32 v90, 0x3aee, v37
	v_fmac_f16_e32 v3, -0.5, v39
	v_fmac_f16_e32 v97, -0.5, v73
	v_fma_f16 v0, -0.5, v81, v0
	v_fmac_f16_e32 v98, -0.5, v80
	v_fmac_f16_e32 v1, -0.5, v94
	;; [unrolled: 1-line block ×3, first 2 shown]
	v_fma_f16 v4, -0.5, v100, v4
	v_fmac_f16_e32 v104, -0.5, v93
	v_fmac_f16_e32 v5, -0.5, v106
	;; [unrolled: 1-line block ×3, first 2 shown]
	v_pack_b32_f16 v72, v72, v74
	v_pack_b32_f16 v6, v6, v84
	;; [unrolled: 1-line block ×3, first 2 shown]
	v_sub_f16_e32 v118, v15, v13
	v_sub_f16_e32 v125, v9, v8
	v_add_f16_e32 v16, v38, v16
	v_add_f16_e32 v37, v71, v78
	;; [unrolled: 1-line block ×4, first 2 shown]
	v_fma_f16 v93, -0.5, v116, v32
	v_fma_f16 v94, -0.5, v123, v33
	v_pack_b32_f16 v7, v7, v87
	v_pack_b32_f16 v22, v22, v35
	v_fmamk_f16 v35, v70, 0x3aee, v3
	v_fmac_f16_e32 v3, 0xbaee, v70
	v_fmamk_f16 v70, v14, 0xbaee, v97
	v_fmac_f16_e32 v97, 0x3aee, v14
	;; [unrolled: 2-line block ×10, first 2 shown]
	v_pack_b32_f16 v2, v2, v90
	v_add_f16_e32 v38, v86, v82
	v_add_f16_e32 v18, v89, v18
	;; [unrolled: 1-line block ×6, first 2 shown]
	ds_store_2addr_b32 v153, v12, v72 offset1:10
	ds_store_b32 v153, v6 offset:80
	ds_store_2addr_b32 v152, v23, v21 offset1:10
	v_pack_b32_f16 v6, v24, v34
	v_fmamk_f16 v95, v118, 0x3aee, v93
	v_fmac_f16_e32 v93, 0xbaee, v118
	v_fmamk_f16 v96, v125, 0xbaee, v94
	v_fmac_f16_e32 v94, 0x3aee, v125
	ds_store_b32 v152, v7 offset:80
	v_pack_b32_f16 v7, v16, v37
	ds_store_b32 v154, v2 offset:80
	v_pack_b32_f16 v2, v35, v70
	v_pack_b32_f16 v3, v3, v97
	;; [unrolled: 1-line block ×10, first 2 shown]
	ds_store_2addr_b32 v154, v22, v6 offset1:10
	v_pack_b32_f16 v6, v14, v74
	v_pack_b32_f16 v14, v19, v76
	;; [unrolled: 1-line block ×4, first 2 shown]
	s_clause 0x1
	scratch_store_b32 off, v152, off offset:24
	scratch_store_b32 off, v154, off offset:32
	ds_store_2addr_b32 v151, v7, v2 offset1:10
	scratch_store_b32 off, v151, off offset:20 ; 4-byte Folded Spill
	ds_store_b32 v151, v3 offset:80
	ds_store_2addr_b32 v150, v11, v6 offset1:10
	scratch_store_b32 off, v150, off offset:16 ; 4-byte Folded Spill
	ds_store_b32 v150, v0 offset:80
	ds_store_2addr_b32 v149, v12, v14 offset1:10
	scratch_store_b32 off, v149, off offset:12 ; 4-byte Folded Spill
	ds_store_b32 v149, v1 offset:80
	ds_store_2addr_b32 v146, v16, v18 offset1:10
	scratch_store_b32 off, v146, off offset:8 ; 4-byte Folded Spill
	ds_store_b32 v146, v4 offset:80
	ds_store_2addr_b32 v144, v17, v10 offset1:10
	scratch_store_b32 off, v144, off offset:4 ; 4-byte Folded Spill
	ds_store_b32 v144, v5 offset:80
	s_and_saveexec_b32 s1, s0
	s_cbranch_execz .LBB0_11
; %bb.10:
	scratch_load_b32 v2, off, off           ; 4-byte Folded Reload
	v_add_f16_e32 v0, v33, v15
	v_add_f16_e32 v1, v32, v9
	v_perm_b32 v3, v96, v95, 0x5040100
	s_delay_alu instid0(VALU_DEP_3) | instskip(NEXT) | instid1(VALU_DEP_3)
	v_add_f16_e32 v0, v0, v13
	v_add_f16_e32 v1, v1, v8
	s_delay_alu instid0(VALU_DEP_1) | instskip(SKIP_3) | instid1(VALU_DEP_1)
	v_pack_b32_f16 v0, v1, v0
	v_perm_b32 v1, v94, v93, 0x5040100
	s_wait_loadcnt 0x0
	v_and_b32_e32 v2, 0xffff, v2
	v_lshlrev_b32_e32 v2, 2, v2
	ds_store_2addr_b32 v2, v0, v3 offset1:10
	ds_store_b32 v2, v1 offset:80
.LBB0_11:
	s_wait_alu 0xfffe
	s_or_b32 exec_lo, exec_lo, s1
	v_and_b32_e32 v0, 0xff, v142
	v_mul_lo_u16 v1, 0x89, v36
	global_wb scope:SCOPE_SE
	s_wait_storecnt_dscnt 0x0
	s_barrier_signal -1
	s_barrier_wait -1
	v_mul_lo_u16 v0, 0x89, v0
	v_lshrrev_b16 v22, 12, v1
	global_inv scope:SCOPE_SE
	v_add_nc_u32_e32 v20, 0xc00, v110
	v_add_nc_u32_e32 v21, 0x1c00, v110
	v_lshrrev_b16 v12, 12, v0
	v_mul_lo_u16 v0, v22, 30
	v_add_nc_u32_e32 v24, 0x1400, v110
	v_add_nc_u32_e32 v69, 0x800, v110
	;; [unrolled: 1-line block ×3, first 2 shown]
	v_mul_lo_u16 v1, v12, 30
	v_sub_nc_u16 v0, v92, v0
	v_and_b32_e32 v12, 0xffff, v12
	v_add_nc_u32_e32 v153, 0x1000, v110
	v_add_nc_u32_e32 v154, 0x1e00, v110
	v_sub_nc_u16 v1, v142, v1
	v_and_b32_e32 v23, 0xff, v0
	v_mul_u32_u24_e32 v12, 0x96, v12
	v_add_nc_u32_e32 v155, 0xa00, v110
	v_add_nc_u32_e32 v156, 0x1800, v110
	v_and_b32_e32 v13, 0xff, v1
	v_lshlrev_b32_e32 v0, 4, v23
	v_and_b32_e32 v22, 0xffff, v22
	s_delay_alu instid0(VALU_DEP_3) | instskip(SKIP_1) | instid1(VALU_DEP_3)
	v_lshlrev_b32_e32 v4, 4, v13
	v_add_lshl_u32 v166, v12, v13, 2
	v_mul_u32_u24_e32 v22, 0x96, v22
	s_clause 0x1
	global_load_b128 v[0:3], v0, s[2:3] offset:80
	global_load_b128 v[4:7], v4, s[2:3] offset:80
	ds_load_2addr_b32 v[10:11], v20 offset0:132 offset1:222
	ds_load_2addr_b32 v[8:9], v21 offset0:8 offset1:98
	;; [unrolled: 1-line block ×4, first 2 shown]
	ds_load_b32 v152, v110 offset:8640
	v_add_lshl_u32 v186, v22, v23, 2
	s_wait_dscnt 0x4
	v_lshrrev_b32_e32 v15, 16, v11
	s_wait_dscnt 0x3
	v_lshrrev_b32_e32 v16, 16, v9
	v_lshrrev_b32_e32 v17, 16, v8
	;; [unrolled: 1-line block ×3, first 2 shown]
	s_wait_loadcnt 0x1
	v_lshrrev_b32_e32 v192, 16, v1
	v_lshrrev_b32_e32 v191, 16, v3
	s_wait_loadcnt 0x0
	v_lshrrev_b32_e32 v194, 16, v7
	v_lshrrev_b32_e32 v193, 16, v2
	;; [unrolled: 1-line block ×3, first 2 shown]
	v_mul_f16_e64 v12, v15, v192
	v_mul_f16_e64 v80, v11, v192
	;; [unrolled: 1-line block ×5, first 2 shown]
	v_fma_f16 v81, v11, v1, -v12
	v_mul_f16_e64 v11, v17, v194
	v_fma_f16 v85, v9, v3, -v18
	s_wait_dscnt 0x2
	v_mul_f16_e64 v88, v32, v193
	s_wait_dscnt 0x1
	v_lshrrev_b32_e32 v9, 16, v34
	v_mul_f16_e64 v89, v34, v196
	v_fma_f16 v86, v8, v7, -v11
	v_lshrrev_b32_e32 v8, 16, v32
	v_lshrrev_b32_e32 v195, 16, v5
	v_fmac_f16_e32 v80, v15, v1
	v_fmac_f16_e32 v89, v9, v0
	v_mul_f16_e64 v9, v9, v196
	v_fmac_f16_e32 v88, v8, v2
	v_mul_f16_e64 v8, v8, v193
	v_mul_f16_e64 v13, v14, v195
	;; [unrolled: 1-line block ×3, first 2 shown]
	v_fma_f16 v34, v34, v0, -v9
	v_fmac_f16_e32 v84, v16, v3
	v_fma_f16 v90, v32, v2, -v8
	ds_load_2addr_b32 v[8:9], v110 offset1:90
	v_fma_f16 v82, v10, v5, -v13
	v_add_nc_u32_e32 v32, 0x400, v110
	v_lshrrev_b32_e32 v197, 16, v6
	v_add_f16_e32 v10, v81, v90
	v_sub_f16_e32 v12, v90, v85
	v_lshrrev_b32_e32 v198, 16, v4
	ds_load_2addr_b32 v[36:37], v32 offset0:104 offset1:194
	v_sub_f16_e32 v105, v80, v88
	v_sub_f16_e32 v107, v81, v90
	;; [unrolled: 1-line block ×4, first 2 shown]
	v_fmac_f16_e32 v83, v14, v5
	v_fmac_f16_e32 v87, v17, v7
	s_wait_dscnt 0x1
	v_fma_f16 v97, -0.5, v10, v9
	v_add_f16_e32 v10, v34, v85
	v_lshrrev_b32_e32 v11, 16, v9
	v_add_f16_e32 v98, v9, v34
	v_lshrrev_b32_e32 v120, 16, v8
	s_delay_alu instid0(VALU_DEP_4)
	v_fmac_f16_e32 v9, -0.5, v10
	v_sub_f16_e32 v10, v81, v34
	v_add_f16_e32 v101, v11, v89
	s_wait_dscnt 0x0
	v_mul_f16_e64 v103, v37, v198
	v_fmamk_f16 v106, v105, 0xbb9c, v9
	v_add_f16_e32 v99, v10, v12
	v_add_f16_e32 v10, v80, v88
	v_sub_f16_e32 v12, v88, v84
	v_fmac_f16_e32 v9, 0x3b9c, v105
	v_fmac_f16_e32 v106, 0x38b4, v109
	s_delay_alu instid0(VALU_DEP_4) | instskip(SKIP_1) | instid1(VALU_DEP_4)
	v_fma_f16 v100, -0.5, v10, v11
	v_add_f16_e32 v10, v89, v84
	v_fmac_f16_e32 v9, 0xb8b4, v109
	s_delay_alu instid0(VALU_DEP_4) | instskip(NEXT) | instid1(VALU_DEP_3)
	v_fmac_f16_e32 v106, 0x34f2, v99
	v_fmac_f16_e32 v11, -0.5, v10
	v_sub_f16_e32 v10, v80, v89
	s_delay_alu instid0(VALU_DEP_4) | instskip(NEXT) | instid1(VALU_DEP_3)
	v_fmac_f16_e32 v9, 0x34f2, v99
	v_fmamk_f16 v108, v107, 0x3b9c, v11
	s_delay_alu instid0(VALU_DEP_3)
	v_add_f16_e32 v102, v10, v12
	v_add_nc_u32_e32 v12, 0x1200, v110
	v_lshrrev_b32_e32 v10, 16, v37
	v_fmac_f16_e32 v11, 0xbb9c, v107
	v_fmac_f16_e32 v108, 0xb8b4, v112
	ds_load_2addr_b32 v[38:39], v12 offset0:108 offset1:198
	v_fmac_f16_e32 v103, v10, v4
	v_mul_f16_e64 v10, v10, v198
	v_fmac_f16_e32 v11, 0x38b4, v112
	v_fmac_f16_e32 v108, 0x34f2, v102
	s_delay_alu instid0(VALU_DEP_4) | instskip(NEXT) | instid1(VALU_DEP_4)
	v_sub_f16_e64 v130, v103, v87
	v_fma_f16 v37, v37, v4, -v10
	s_delay_alu instid0(VALU_DEP_4) | instskip(NEXT) | instid1(VALU_DEP_2)
	v_fmac_f16_e32 v11, 0x34f2, v102
	v_sub_f16_e64 v134, v37, v86
	s_delay_alu instid0(VALU_DEP_2) | instskip(SKIP_4) | instid1(VALU_DEP_1)
	v_pack_b32_f16 v118, v9, v11
	v_sub_f16_e32 v9, v37, v82
	s_wait_dscnt 0x0
	v_lshrrev_b32_e32 v12, 16, v39
	v_mul_f16_e64 v104, v39, v197
	v_fmac_f16_e32 v104, v12, v6
	v_mul_f16_e64 v12, v12, v197
	s_delay_alu instid0(VALU_DEP_2) | instskip(NEXT) | instid1(VALU_DEP_2)
	v_sub_f16_e64 v133, v83, v104
	v_fma_f16 v39, v39, v6, -v12
	s_delay_alu instid0(VALU_DEP_1) | instskip(SKIP_1) | instid1(VALU_DEP_2)
	v_add_f16_e32 v10, v82, v39
	v_sub_f16_e64 v136, v82, v39
	v_fma_f16 v114, -0.5, v10, v8
	v_add_f16_e32 v10, v37, v86
	s_delay_alu instid0(VALU_DEP_1) | instskip(SKIP_2) | instid1(VALU_DEP_2)
	v_fma_f16 v116, -0.5, v10, v8
	v_sub_f16_e32 v10, v86, v39
	v_add_f16_e32 v8, v8, v37
	v_add_f16_e32 v123, v9, v10
	v_sub_f16_e32 v9, v103, v83
	v_sub_f16_e32 v10, v87, v104
	s_delay_alu instid0(VALU_DEP_4) | instskip(NEXT) | instid1(VALU_DEP_2)
	v_add_f16_e32 v8, v8, v82
	v_add_f16_e32 v125, v9, v10
	;; [unrolled: 1-line block ×3, first 2 shown]
	s_delay_alu instid0(VALU_DEP_3) | instskip(SKIP_1) | instid1(VALU_DEP_3)
	v_add_f16_e32 v8, v8, v39
	v_mul_u32_u24_e32 v10, 0x8889, v27
	v_add_f16_e32 v9, v9, v83
	s_delay_alu instid0(VALU_DEP_3) | instskip(NEXT) | instid1(VALU_DEP_3)
	v_add_f16_e32 v8, v8, v86
	v_lshrrev_b32_e32 v144, 20, v10
	s_delay_alu instid0(VALU_DEP_3) | instskip(NEXT) | instid1(VALU_DEP_1)
	v_add_f16_e32 v9, v9, v104
	v_add_f16_e32 v9, v9, v87
	s_delay_alu instid0(VALU_DEP_1) | instskip(SKIP_1) | instid1(VALU_DEP_1)
	v_pack_b32_f16 v127, v8, v9
	v_add_f16_e32 v8, v83, v104
	v_fma_f16 v129, -0.5, v8, v120
	v_fma_f16 v8, 0x3b9c, v130, v114
	v_fmac_f16_e64 v114, 0xbb9c, v130
	s_delay_alu instid0(VALU_DEP_3) | instskip(NEXT) | instid1(VALU_DEP_3)
	v_fma_f16 v9, 0xbb9c, v134, v129
	v_fmac_f16_e64 v8, 0x38b4, v133
	v_fmac_f16_e64 v129, 0x3b9c, v134
	s_delay_alu instid0(VALU_DEP_4) | instskip(NEXT) | instid1(VALU_DEP_4)
	v_fmac_f16_e64 v114, 0xb8b4, v133
	v_fmac_f16_e64 v9, 0xb8b4, v136
	s_delay_alu instid0(VALU_DEP_4) | instskip(NEXT) | instid1(VALU_DEP_4)
	v_fmac_f16_e32 v8, 0x34f2, v123
	v_fmac_f16_e64 v129, 0x38b4, v136
	s_delay_alu instid0(VALU_DEP_4) | instskip(NEXT) | instid1(VALU_DEP_4)
	v_fmac_f16_e32 v114, 0x34f2, v123
	v_fmac_f16_e32 v9, 0x34f2, v125
	s_delay_alu instid0(VALU_DEP_3) | instskip(NEXT) | instid1(VALU_DEP_2)
	v_fmac_f16_e64 v129, 0x34f2, v125
	v_pack_b32_f16 v139, v8, v9
	v_mul_u32_u24_e32 v8, 0x8889, v25
	v_mul_u32_u24_e32 v9, 0x8889, v26
	s_delay_alu instid0(VALU_DEP_2) | instskip(NEXT) | instid1(VALU_DEP_2)
	v_lshrrev_b32_e32 v27, 20, v8
	v_lshrrev_b32_e32 v141, 20, v9
	s_delay_alu instid0(VALU_DEP_2) | instskip(NEXT) | instid1(VALU_DEP_1)
	v_mul_lo_u16 v8, v27, 30
	v_sub_nc_u16 v146, v91, v8
	s_delay_alu instid0(VALU_DEP_3) | instskip(NEXT) | instid1(VALU_DEP_2)
	v_mul_lo_u16 v8, v141, 30
	v_mad_u16 v27, 0x96, v27, v146
	s_delay_alu instid0(VALU_DEP_2) | instskip(SKIP_1) | instid1(VALU_DEP_2)
	v_sub_nc_u16 v149, v28, v8
	v_mul_lo_u16 v8, v144, 30
	v_lshlrev_b16 v9, 4, v149
	s_delay_alu instid0(VALU_DEP_2) | instskip(SKIP_1) | instid1(VALU_DEP_3)
	v_sub_nc_u16 v150, v30, v8
	v_lshlrev_b16 v8, 4, v146
	v_and_b32_e32 v10, 0xffff, v9
	s_delay_alu instid0(VALU_DEP_3) | instskip(NEXT) | instid1(VALU_DEP_3)
	v_lshlrev_b16 v9, 4, v150
	v_and_b32_e32 v8, 0xffff, v8
	s_delay_alu instid0(VALU_DEP_2) | instskip(NEXT) | instid1(VALU_DEP_2)
	v_and_b32_e32 v12, 0xffff, v9
	v_add_co_u32 v8, s1, s2, v8
	s_wait_alu 0xf1ff
	v_add_co_ci_u32_e64 v9, null, s3, 0, s1
	v_add_co_u32 v10, s1, s2, v10
	s_wait_alu 0xf1ff
	v_add_co_ci_u32_e64 v11, null, s3, 0, s1
	global_load_b128 v[16:19], v[8:9], off offset:80
	v_add_co_u32 v25, s1, s2, v12
	s_wait_alu 0xf1ff
	v_add_co_ci_u32_e64 v26, null, s3, 0, s1
	ds_load_2addr_b32 v[70:71], v151 offset0:52 offset1:142
	ds_load_2addr_b32 v[72:73], v153 offset0:56 offset1:146
	ds_load_2addr_b32 v[74:75], v154 offset0:60 offset1:150
	ds_load_2addr_b32 v[76:77], v155 offset0:80 offset1:170
	ds_load_2addr_b32 v[78:79], v156 offset0:84 offset1:174
	s_clause 0x1
	global_load_b128 v[12:15], v[10:11], off offset:80
	global_load_b128 v[8:11], v[25:26], off offset:80
	v_sub_f16_e32 v25, v82, v37
	v_sub_f16_e32 v26, v39, v86
	;; [unrolled: 1-line block ×4, first 2 shown]
	v_add_f16_e32 v39, v103, v87
	global_wb scope:SCOPE_SE
	s_wait_loadcnt_dscnt 0x0
	v_add_f16_e32 v25, v25, v26
	s_barrier_signal -1
	v_add_f16_e32 v26, v37, v82
	v_fma_f16 v37, 0xbb9c, v133, v116
	v_fmac_f16_e64 v116, 0x3b9c, v133
	v_fmac_f16_e32 v120, -0.5, v39
	s_barrier_wait -1
	global_inv scope:SCOPE_SE
	v_fmac_f16_e64 v37, 0x38b4, v130
	v_fmac_f16_e64 v116, 0xb8b4, v130
	v_sub_f16_e32 v39, v85, v90
	ds_store_2addr_b32 v166, v127, v139 offset1:30
	v_fmac_f16_e32 v37, 0x34f2, v25
	v_fmac_f16_e32 v116, 0x34f2, v25
	v_fma_f16 v25, 0x3b9c, v136, v120
	v_fmac_f16_e64 v120, 0xbb9c, v136
	s_delay_alu instid0(VALU_DEP_2) | instskip(NEXT) | instid1(VALU_DEP_2)
	v_fmac_f16_e64 v25, 0xb8b4, v134
	v_fmac_f16_e64 v120, 0x38b4, v134
	s_delay_alu instid0(VALU_DEP_2) | instskip(NEXT) | instid1(VALU_DEP_2)
	v_fmac_f16_e32 v25, 0x34f2, v26
	v_fmac_f16_e32 v120, 0x34f2, v26
	s_delay_alu instid0(VALU_DEP_2) | instskip(NEXT) | instid1(VALU_DEP_2)
	v_pack_b32_f16 v25, v37, v25
	v_pack_b32_f16 v26, v116, v120
	v_add_f16_e32 v37, v101, v80
	ds_store_2addr_b32 v166, v25, v26 offset0:60 offset1:90
	v_add_f16_e32 v26, v98, v81
	v_add_f16_e32 v37, v37, v88
	v_sub_f16_e32 v25, v34, v81
	v_sub_f16_e32 v34, v89, v80
	;; [unrolled: 1-line block ×3, first 2 shown]
	v_add_f16_e32 v26, v26, v90
	v_add_f16_e32 v37, v37, v84
	v_add_f16_e32 v22, v25, v39
	v_lshrrev_b32_e32 v39, 16, v74
	v_add_f16_e32 v23, v34, v80
	v_add_f16_e32 v26, v26, v85
	v_fmamk_f16 v34, v109, 0x3b9c, v97
	v_lshrrev_b32_e32 v81, 16, v70
	v_fmac_f16_e32 v97, 0xbb9c, v109
	s_delay_alu instid0(VALU_DEP_4)
	v_pack_b32_f16 v25, v26, v37
	v_fmamk_f16 v37, v112, 0xbb9c, v100
	v_fmac_f16_e32 v34, 0x38b4, v105
	v_pack_b32_f16 v26, v114, v129
	v_fmac_f16_e32 v100, 0x3b9c, v112
	v_fmac_f16_e32 v97, 0xb8b4, v105
	;; [unrolled: 1-line block ×4, first 2 shown]
	s_delay_alu instid0(VALU_DEP_4) | instskip(NEXT) | instid1(VALU_DEP_4)
	v_fmac_f16_e32 v100, 0x38b4, v107
	v_fmac_f16_e32 v97, 0x34f2, v22
	s_delay_alu instid0(VALU_DEP_4) | instskip(NEXT) | instid1(VALU_DEP_3)
	v_fmac_f16_e32 v37, 0x34f2, v23
	v_fmac_f16_e32 v100, 0x34f2, v23
	s_delay_alu instid0(VALU_DEP_2)
	v_pack_b32_f16 v34, v34, v37
	ds_store_b32 v166, v26 offset:480
	ds_store_2addr_b32 v186, v25, v34 offset1:30
	v_pack_b32_f16 v25, v106, v108
	ds_store_2addr_b32 v186, v25, v118 offset0:60 offset1:90
	v_lshrrev_b32_e32 v25, 16, v35
	v_lshrrev_b32_e32 v200, 16, v16
	;; [unrolled: 1-line block ×5, first 2 shown]
	s_delay_alu instid0(VALU_DEP_4) | instskip(SKIP_2) | instid1(VALU_DEP_4)
	v_mul_f16_e64 v26, v25, v200
	v_mul_f16_e64 v34, v35, v200
	v_lshrrev_b32_e32 v204, 16, v13
	v_mul_f16_e64 v80, v74, v201
	v_lshrrev_b32_e32 v203, 16, v15
	v_fma_f16 v26, v35, v16, -v26
	v_lshrrev_b32_e32 v35, 16, v33
	v_fmac_f16_e32 v34, v25, v16
	v_lshrrev_b32_e32 v25, 16, v72
	v_fmac_f16_e32 v80, v39, v19
	v_mul_f16_e64 v39, v39, v201
	v_mul_f16_e64 v37, v35, v199
	v_add_f16_e32 v82, v81, v34
	v_lshrrev_b32_e32 v206, 16, v12
	v_sub_f16_e32 v84, v34, v80
	v_fma_f16 v39, v74, v19, -v39
	v_fma_f16 v37, v33, v18, -v37
	v_mul_f16_e64 v33, v33, v199
	v_lshrrev_b32_e32 v205, 16, v14
	v_lshrrev_b32_e32 v209, 16, v8
	v_sub_f16_e32 v87, v26, v39
	v_sub_f16_e32 v74, v39, v37
	v_fmac_f16_e32 v33, v35, v18
	v_mul_f16_e64 v35, v72, v202
	v_lshrrev_b32_e32 v210, 16, v9
	v_lshrrev_b32_e32 v208, 16, v10
	;; [unrolled: 1-line block ×3, first 2 shown]
	v_sub_f16_e32 v23, v80, v33
	v_fmac_f16_e32 v35, v25, v17
	v_mul_f16_e64 v25, v25, v202
	s_delay_alu instid0(VALU_DEP_2) | instskip(NEXT) | instid1(VALU_DEP_2)
	v_add_f16_e32 v82, v82, v35
	v_fma_f16 v25, v72, v17, -v25
	v_sub_f16_e32 v22, v34, v35
	v_add_f16_e32 v83, v35, v33
	v_sub_f16_e32 v85, v35, v33
	v_add_f16_e32 v82, v82, v33
	;; [unrolled: 2-line block ×3, first 2 shown]
	v_pack_b32_f16 v23, v97, v100
	v_sub_f16_e32 v88, v25, v37
	v_add_f16_e32 v82, v82, v80
	v_add_f16_e32 v72, v72, v74
	;; [unrolled: 1-line block ×3, first 2 shown]
	ds_store_b32 v186, v23 offset:480
	v_and_b32_e32 v23, 0xffff, v27
	v_add_f16_e32 v27, v34, v80
	v_fma_f16 v83, -0.5, v83, v81
	v_add_f16_e32 v74, v74, v25
	v_sub_f16_e32 v33, v33, v80
	v_lshlrev_b32_e32 v187, 2, v23
	v_sub_f16_e32 v23, v35, v34
	v_sub_f16_e32 v34, v37, v39
	v_add_f16_e32 v74, v74, v37
	v_fmac_f16_e32 v81, -0.5, v27
	v_fmamk_f16 v89, v87, 0xbb9c, v83
	v_add_f16_e32 v23, v23, v33
	v_fmac_f16_e32 v83, 0x3b9c, v87
	v_add_f16_e32 v74, v74, v39
	v_mad_u16 v35, 0x96, v141, v149
	v_fmac_f16_e32 v89, 0xb8b4, v88
	s_delay_alu instid0(VALU_DEP_4) | instskip(NEXT) | instid1(VALU_DEP_4)
	v_fmac_f16_e32 v83, 0x38b4, v88
	v_pack_b32_f16 v74, v74, v82
	v_add_f16_e32 v82, v25, v37
	v_sub_f16_e32 v25, v25, v26
	v_add_f16_e32 v26, v26, v39
	v_lshrrev_b32_e32 v37, 16, v78
	v_mul_f16_e64 v39, v78, v205
	v_fma_f16 v82, -0.5, v82, v70
	v_add_f16_e32 v25, v25, v34
	v_fma_f16 v26, -0.5, v26, v70
	v_mul_f16_e64 v34, v75, v203
	v_fmac_f16_e32 v39, v37, v14
	v_fmamk_f16 v86, v84, 0x3b9c, v82
	v_mul_f16_e64 v37, v37, v205
	v_fmamk_f16 v27, v85, 0xbb9c, v26
	v_fmac_f16_e32 v26, 0x3b9c, v85
	v_fmac_f16_e32 v89, 0x34f2, v22
	;; [unrolled: 1-line block ×6, first 2 shown]
	v_fma_f16 v37, v78, v14, -v37
	v_fmac_f16_e32 v86, 0x34f2, v72
	v_fmac_f16_e32 v82, 0xb8b4, v85
	;; [unrolled: 1-line block ×4, first 2 shown]
	v_fmamk_f16 v25, v88, 0x3b9c, v81
	v_fmac_f16_e32 v81, 0xbb9c, v88
	v_pack_b32_f16 v86, v86, v89
	v_fmac_f16_e32 v82, 0x34f2, v72
	v_lshrrev_b32_e32 v72, 16, v71
	v_fmac_f16_e32 v25, 0xb8b4, v87
	v_fmac_f16_e32 v81, 0x38b4, v87
	ds_store_2addr_b32 v187, v74, v86 offset1:30
	v_fmac_f16_e32 v83, 0x34f2, v22
	v_and_b32_e32 v35, 0xffff, v35
	v_fmac_f16_e32 v25, 0x34f2, v23
	v_fmac_f16_e32 v81, 0x34f2, v23
	s_delay_alu instid0(VALU_DEP_3) | instskip(NEXT) | instid1(VALU_DEP_3)
	v_lshlrev_b32_e32 v188, 2, v35
	v_pack_b32_f16 v23, v27, v25
	s_delay_alu instid0(VALU_DEP_3)
	v_pack_b32_f16 v25, v26, v81
	v_mul_f16_e64 v26, v73, v204
	v_lshrrev_b32_e32 v27, 16, v75
	v_mul_f16_e64 v35, v77, v209
	ds_store_2addr_b32 v187, v23, v25 offset0:60 offset1:90
	v_lshrrev_b32_e32 v23, 16, v73
	v_mul_f16_e64 v33, v27, v203
	v_fmac_f16_e32 v34, v27, v15
	v_mul_f16_e64 v27, v76, v206
	s_delay_alu instid0(VALU_DEP_4)
	v_mul_f16_e64 v25, v23, v204
	v_fmac_f16_e32 v26, v23, v13
	v_lshrrev_b32_e32 v23, 16, v76
	v_fma_f16 v33, v75, v15, -v33
	v_sub_f16_e32 v74, v34, v39
	v_fma_f16 v25, v73, v13, -v25
	v_add_f16_e32 v81, v26, v39
	v_fmac_f16_e32 v27, v23, v12
	v_mul_f16_e64 v23, v23, v206
	v_sub_f16_e32 v73, v33, v37
	v_add_f16_e32 v75, v25, v37
	v_fma_f16 v81, -0.5, v81, v72
	v_sub_f16_e32 v78, v26, v39
	v_fma_f16 v23, v76, v12, -v23
	v_sub_f16_e32 v76, v27, v34
	v_fma_f16 v75, -0.5, v75, v71
	v_sub_f16_e32 v84, v25, v37
	s_delay_alu instid0(VALU_DEP_4) | instskip(SKIP_1) | instid1(VALU_DEP_4)
	v_sub_f16_e32 v70, v23, v25
	v_add_f16_e32 v22, v71, v23
	v_fmamk_f16 v80, v76, 0x3b9c, v75
	v_fmac_f16_e32 v75, 0xbb9c, v76
	s_delay_alu instid0(VALU_DEP_4) | instskip(SKIP_4) | instid1(VALU_DEP_4)
	v_add_f16_e32 v70, v70, v73
	v_sub_f16_e32 v73, v27, v26
	v_add_f16_e32 v22, v22, v25
	v_fmac_f16_e32 v80, 0x38b4, v78
	v_fmac_f16_e32 v75, 0xb8b4, v78
	v_add_f16_e32 v73, v73, v74
	v_add_f16_e32 v74, v72, v27
	;; [unrolled: 1-line block ×3, first 2 shown]
	v_fmac_f16_e32 v80, 0x34f2, v70
	v_fmac_f16_e32 v75, 0x34f2, v70
	s_delay_alu instid0(VALU_DEP_4) | instskip(NEXT) | instid1(VALU_DEP_4)
	v_add_f16_e32 v74, v74, v26
	v_add_f16_e32 v22, v22, v33
	v_sub_f16_e32 v26, v26, v27
	v_add_f16_e32 v27, v27, v34
	s_delay_alu instid0(VALU_DEP_4) | instskip(NEXT) | instid1(VALU_DEP_2)
	v_add_f16_e32 v74, v74, v39
	v_fmac_f16_e32 v72, -0.5, v27
	s_delay_alu instid0(VALU_DEP_2) | instskip(NEXT) | instid1(VALU_DEP_1)
	v_add_f16_e32 v74, v74, v34
	v_pack_b32_f16 v22, v22, v74
	v_pack_b32_f16 v74, v82, v83
	v_sub_f16_e32 v82, v23, v33
	ds_store_b32 v187, v74 offset:480
	v_fmamk_f16 v83, v82, 0xbb9c, v81
	v_mul_f16_e64 v74, v79, v208
	v_fmac_f16_e32 v81, 0x3b9c, v82
	s_delay_alu instid0(VALU_DEP_3) | instskip(NEXT) | instid1(VALU_DEP_2)
	v_fmac_f16_e32 v83, 0xb8b4, v84
	v_fmac_f16_e32 v81, 0x38b4, v84
	s_delay_alu instid0(VALU_DEP_2) | instskip(NEXT) | instid1(VALU_DEP_2)
	v_fmac_f16_e32 v83, 0x34f2, v73
	v_fmac_f16_e32 v81, 0x34f2, v73
	s_delay_alu instid0(VALU_DEP_2)
	v_pack_b32_f16 v80, v80, v83
	ds_store_2addr_b32 v188, v22, v80 offset1:30
	v_sub_f16_e32 v22, v25, v23
	v_add_f16_e32 v23, v23, v33
	v_sub_f16_e32 v25, v37, v33
	v_sub_f16_e32 v33, v39, v34
	v_lshrrev_b32_e32 v37, 16, v38
	s_delay_alu instid0(VALU_DEP_4) | instskip(NEXT) | instid1(VALU_DEP_4)
	v_fmac_f16_e32 v71, -0.5, v23
	v_add_f16_e32 v22, v22, v25
	s_delay_alu instid0(VALU_DEP_4)
	v_add_f16_e32 v23, v26, v33
	v_fmamk_f16 v26, v84, 0x3b9c, v72
	v_fmac_f16_e32 v72, 0xbb9c, v84
	v_fmamk_f16 v25, v78, 0xbb9c, v71
	v_fmac_f16_e32 v71, 0x3b9c, v78
	v_lshrrev_b32_e32 v33, 16, v77
	v_mul_f16_e64 v39, v37, v210
	v_fmac_f16_e32 v72, 0x38b4, v82
	v_fmac_f16_e32 v25, 0x38b4, v76
	;; [unrolled: 1-line block ×3, first 2 shown]
	v_mul_f16_e64 v34, v33, v209
	v_fma_f16 v39, v38, v9, -v39
	v_fmac_f16_e32 v72, 0x34f2, v23
	v_mul_f16_e64 v38, v38, v210
	v_fmac_f16_e32 v71, 0x34f2, v22
	v_fmac_f16_e32 v35, v33, v8
	v_lshrrev_b32_e32 v33, 16, v152
	v_fma_f16 v34, v77, v8, -v34
	v_fmac_f16_e32 v38, v37, v9
	v_pack_b32_f16 v27, v71, v72
	v_lshrrev_b32_e32 v71, 16, v79
	v_mul_f16_e64 v37, v33, v207
	v_fmac_f16_e32 v26, 0xb8b4, v82
	v_lshrrev_b32_e32 v77, 16, v36
	v_fmac_f16_e32 v25, 0x34f2, v22
	v_mul_f16_e64 v72, v71, v208
	v_fmac_f16_e32 v74, v71, v10
	v_mul_f16_e64 v71, v152, v207
	v_fma_f16 v37, v152, v11, -v37
	v_fmac_f16_e32 v26, 0x34f2, v23
	v_fma_f16 v72, v79, v10, -v72
	v_add_f16_e32 v79, v36, v34
	v_fmac_f16_e32 v71, v33, v11
	v_add_f16_e32 v83, v77, v35
	v_pack_b32_f16 v22, v25, v26
	v_add_f16_e32 v33, v39, v72
	v_sub_f16_e32 v80, v72, v37
	v_sub_f16_e32 v85, v74, v71
	v_add_f16_e32 v26, v83, v38
	ds_store_2addr_b32 v188, v22, v27 offset0:60 offset1:90
	v_fma_f16 v97, -0.5, v33, v36
	v_add_f16_e32 v33, v34, v37
	v_add_f16_e32 v22, v79, v39
	v_add_f16_e32 v26, v26, v74
	v_sub_f16_e32 v87, v35, v71
	v_sub_f16_e32 v90, v34, v37
	v_fmac_f16_e32 v36, -0.5, v33
	v_sub_f16_e32 v33, v39, v34
	v_add_f16_e32 v22, v22, v72
	v_add_f16_e32 v26, v26, v71
	v_sub_f16_e32 v88, v39, v72
	v_sub_f16_e32 v23, v34, v39
	v_add_f16_e32 v33, v33, v80
	v_add_f16_e32 v80, v38, v74
	;; [unrolled: 1-line block ×3, first 2 shown]
	v_sub_f16_e32 v25, v37, v72
	v_sub_f16_e32 v27, v35, v38
	v_sub_f16_e32 v34, v71, v74
	v_fma_f16 v98, -0.5, v80, v77
	v_add_f16_e32 v80, v35, v71
	v_pack_b32_f16 v22, v22, v26
	v_fmamk_f16 v26, v87, 0x3b9c, v97
	v_add_f16_e32 v23, v23, v25
	v_add_f16_e32 v25, v27, v34
	v_fmac_f16_e32 v77, -0.5, v80
	v_sub_f16_e32 v80, v38, v35
	v_fmamk_f16 v35, v90, 0xbb9c, v98
	v_mad_u16 v27, 0x96, v144, v150
	v_fmac_f16_e32 v97, 0xbb9c, v87
	v_fmamk_f16 v89, v88, 0x3b9c, v77
	v_add_f16_e32 v80, v80, v85
	v_sub_f16_e32 v85, v38, v74
	v_fmac_f16_e32 v77, 0xbb9c, v88
	v_fmac_f16_e32 v35, 0xb8b4, v88
	v_and_b32_e32 v27, 0xffff, v27
	v_fmac_f16_e32 v89, 0xb8b4, v90
	v_fmamk_f16 v86, v85, 0xbb9c, v36
	v_fmac_f16_e32 v36, 0x3b9c, v85
	v_fmac_f16_e32 v26, 0x38b4, v85
	;; [unrolled: 1-line block ×9, first 2 shown]
	v_pack_b32_f16 v34, v75, v81
	v_fmac_f16_e32 v36, 0x34f2, v33
	v_pack_b32_f16 v26, v26, v35
	v_lshlrev_b32_e32 v189, 2, v27
	v_fmac_f16_e32 v86, 0x34f2, v33
	v_fmac_f16_e32 v89, 0x34f2, v80
	;; [unrolled: 1-line block ×4, first 2 shown]
	v_pack_b32_f16 v36, v36, v77
	ds_store_b32 v188, v34 offset:480
	ds_store_2addr_b32 v189, v22, v26 offset1:30
	v_pack_b32_f16 v22, v86, v89
	v_fmac_f16_e32 v97, 0x34f2, v23
	v_fmac_f16_e32 v98, 0x34f2, v25
	ds_store_2addr_b32 v189, v22, v36 offset0:60 offset1:90
	v_pack_b32_f16 v22, v97, v98
	ds_store_b32 v189, v22 offset:480
	v_add_nc_u32_e32 v22, 0x1600, v110
	global_wb scope:SCOPE_SE
	s_wait_dscnt 0x0
	s_barrier_signal -1
	s_barrier_wait -1
	global_inv scope:SCOPE_SE
	ds_load_2addr_b32 v[89:90], v155 offset0:110 offset1:200
	ds_load_2addr_b32 v[87:88], v22 offset0:92 offset1:182
	;; [unrolled: 1-line block ×11, first 2 shown]
	ds_load_2addr_b32 v[85:86], v110 offset1:90
	s_and_saveexec_b32 s1, s0
	s_cbranch_execz .LBB0_13
; %bb.12:
	ds_load_b32 v97, v110 offset:2880
	ds_load_b32 v95, v110 offset:5880
	;; [unrolled: 1-line block ×3, first 2 shown]
	s_wait_dscnt 0x2
	v_lshrrev_b32_e32 v98, 16, v97
	s_wait_dscnt 0x1
	v_lshrrev_b32_e32 v96, 16, v95
	;; [unrolled: 2-line block ×3, first 2 shown]
.LBB0_13:
	s_wait_alu 0xfffe
	s_or_b32 exec_lo, exec_lo, s1
	v_add_co_u32 v69, s1, 0xffffffc4, v142
	s_wait_alu 0xf1ff
	v_add_co_ci_u32_e64 v70, null, 0, -1, s1
	v_cmp_gt_u16_e64 s1, 60, v142
	s_wait_dscnt 0xa
	v_lshrrev_b32_e32 v73, 16, v87
	s_wait_dscnt 0x0
	v_lshrrev_b32_e32 v107, 16, v85
	s_wait_alu 0xf1ff
	v_cndmask_b32_e64 v70, v70, v43, s1
	v_cndmask_b32_e64 v69, v69, v92, s1
	v_cmp_lt_u16_e64 s1, 59, v142
	s_wait_alu 0xf1ff
	s_delay_alu instid0(VALU_DEP_1) | instskip(NEXT) | instid1(VALU_DEP_1)
	v_cndmask_b32_e64 v43, 0, 0x1c2, s1
	v_add_lshl_u32 v190, v69, v43, 2
	v_lshrrev_b16 v43, 1, v66
	v_lshlrev_b64_e32 v[69:70], 3, v[69:70]
	s_delay_alu instid0(VALU_DEP_2) | instskip(NEXT) | instid1(VALU_DEP_2)
	v_and_b32_e32 v43, 0xffff, v43
	v_add_co_u32 v69, s1, s2, v69
	s_wait_alu 0xf1ff
	s_delay_alu instid0(VALU_DEP_3) | instskip(NEXT) | instid1(VALU_DEP_3)
	v_add_co_ci_u32_e64 v70, s1, s3, v70, s1
	v_mul_u32_u24_e32 v43, 0xda75, v43
	s_delay_alu instid0(VALU_DEP_1) | instskip(NEXT) | instid1(VALU_DEP_1)
	v_lshrrev_b32_e32 v43, 22, v43
	v_mul_lo_u16 v43, 0x96, v43
	s_delay_alu instid0(VALU_DEP_1) | instskip(SKIP_1) | instid1(VALU_DEP_1)
	v_sub_nc_u16 v102, v66, v43
	v_lshrrev_b16 v43, 1, v65
	v_and_b32_e32 v43, 0xffff, v43
	s_delay_alu instid0(VALU_DEP_1) | instskip(NEXT) | instid1(VALU_DEP_1)
	v_mul_u32_u24_e32 v43, 0xda75, v43
	v_lshrrev_b32_e32 v100, 22, v43
	s_delay_alu instid0(VALU_DEP_1) | instskip(NEXT) | instid1(VALU_DEP_1)
	v_mul_lo_u16 v43, 0x96, v100
	v_sub_nc_u16 v101, v65, v43
	v_lshrrev_b16 v65, 1, v68
	v_lshrrev_b16 v43, 1, v67
	s_delay_alu instid0(VALU_DEP_2) | instskip(NEXT) | instid1(VALU_DEP_2)
	v_and_b32_e32 v65, 0xffff, v65
	v_and_b32_e32 v43, 0xffff, v43
	s_delay_alu instid0(VALU_DEP_2) | instskip(NEXT) | instid1(VALU_DEP_2)
	v_mul_u32_u24_e32 v65, 0xda75, v65
	v_mul_u32_u24_e32 v43, 0xda75, v43
	s_delay_alu instid0(VALU_DEP_2) | instskip(NEXT) | instid1(VALU_DEP_2)
	v_lshrrev_b32_e32 v65, 22, v65
	v_lshrrev_b32_e32 v43, 22, v43
	s_delay_alu instid0(VALU_DEP_2) | instskip(NEXT) | instid1(VALU_DEP_2)
	v_mul_lo_u16 v65, 0x96, v65
	v_mul_lo_u16 v43, 0x96, v43
	s_delay_alu instid0(VALU_DEP_2) | instskip(SKIP_1) | instid1(VALU_DEP_3)
	v_sub_nc_u16 v99, v68, v65
	v_lshrrev_b16 v65, 1, v28
	v_sub_nc_u16 v43, v67, v43
	s_delay_alu instid0(VALU_DEP_2) | instskip(NEXT) | instid1(VALU_DEP_1)
	v_and_b32_e32 v65, 0xffff, v65
	v_mul_u32_u24_e32 v65, 0xda75, v65
	s_delay_alu instid0(VALU_DEP_1) | instskip(NEXT) | instid1(VALU_DEP_1)
	v_lshrrev_b32_e32 v105, 22, v65
	v_mul_lo_u16 v65, 0x96, v105
	s_delay_alu instid0(VALU_DEP_1) | instskip(NEXT) | instid1(VALU_DEP_1)
	v_sub_nc_u16 v106, v28, v65
	v_lshlrev_b16 v65, 3, v106
	s_delay_alu instid0(VALU_DEP_1) | instskip(NEXT) | instid1(VALU_DEP_1)
	v_and_b32_e32 v65, 0xffff, v65
	v_add_co_u32 v65, s1, s2, v65
	s_wait_alu 0xf1ff
	v_add_co_ci_u32_e64 v66, null, s3, 0, s1
	global_load_b64 v[67:68], v[65:66], off offset:560
	v_lshlrev_b32_e32 v65, 3, v142
	s_clause 0x2
	global_load_b64 v[79:80], v65, s[2:3] offset:560
	global_load_b64 v[71:72], v65, s[2:3] offset:800
	global_load_b64 v[81:82], v[69:70], off offset:560
	v_lshrrev_b32_e32 v65, 16, v89
	s_wait_loadcnt 0x3
	v_lshrrev_b32_e32 v224, 16, v67
	v_lshrrev_b32_e32 v225, 16, v68
	s_wait_loadcnt 0x2
	v_lshrrev_b32_e32 v212, 16, v79
	;; [unrolled: 3-line block ×3, first 2 shown]
	v_lshrrev_b32_e32 v226, 16, v72
	v_mul_f16_e64 v66, v89, v212
	v_mul_f16_e64 v74, v87, v211
	s_delay_alu instid0(VALU_DEP_2) | instskip(NEXT) | instid1(VALU_DEP_2)
	v_fmac_f16_e32 v66, v65, v79
	v_fmac_f16_e32 v74, v73, v80
	v_mul_f16_e64 v65, v65, v212
	v_mul_f16_e64 v73, v73, v211
	s_delay_alu instid0(VALU_DEP_4) | instskip(NEXT) | instid1(VALU_DEP_4)
	v_add_f16_e32 v75, v107, v66
	v_sub_f16_e32 v108, v66, v74
	s_delay_alu instid0(VALU_DEP_4) | instskip(NEXT) | instid1(VALU_DEP_4)
	v_fma_f16 v65, v89, v79, -v65
	v_fma_f16 v73, v87, v80, -v73
	v_add_f16_e32 v66, v66, v74
	v_add_f16_e32 v74, v75, v74
	s_delay_alu instid0(VALU_DEP_4) | instskip(NEXT) | instid1(VALU_DEP_4)
	v_add_f16_e32 v75, v85, v65
	v_add_f16_e32 v76, v65, v73
	v_sub_f16_e32 v87, v65, v73
	v_fmac_f16_e32 v107, -0.5, v66
	s_delay_alu instid0(VALU_DEP_4) | instskip(NEXT) | instid1(VALU_DEP_4)
	v_add_f16_e32 v75, v75, v73
	v_fma_f16 v85, -0.5, v76, v85
	s_delay_alu instid0(VALU_DEP_3) | instskip(SKIP_1) | instid1(VALU_DEP_4)
	v_fmamk_f16 v66, v87, 0xbaee, v107
	v_fmac_f16_e32 v107, 0x3aee, v87
	v_pack_b32_f16 v89, v75, v74
	s_delay_alu instid0(VALU_DEP_4) | instskip(SKIP_1) | instid1(VALU_DEP_2)
	v_fmamk_f16 v65, v108, 0x3aee, v85
	v_fmac_f16_e32 v85, 0xbaee, v108
	v_pack_b32_f16 v109, v65, v66
	v_lshrrev_b16 v65, 1, v30
	s_delay_alu instid0(VALU_DEP_3) | instskip(NEXT) | instid1(VALU_DEP_2)
	v_pack_b32_f16 v85, v85, v107
	v_and_b32_e32 v65, 0xffff, v65
	s_delay_alu instid0(VALU_DEP_1) | instskip(NEXT) | instid1(VALU_DEP_1)
	v_mul_u32_u24_e32 v65, 0xda75, v65
	v_lshrrev_b32_e32 v65, 22, v65
	s_delay_alu instid0(VALU_DEP_1) | instskip(NEXT) | instid1(VALU_DEP_1)
	v_mul_lo_u16 v65, 0x96, v65
	v_sub_nc_u16 v112, v30, v65
	s_delay_alu instid0(VALU_DEP_1) | instskip(NEXT) | instid1(VALU_DEP_1)
	v_lshlrev_b16 v65, 3, v112
	v_and_b32_e32 v65, 0xffff, v65
	s_delay_alu instid0(VALU_DEP_1)
	v_add_co_u32 v65, s1, s2, v65
	s_wait_alu 0xf1ff
	v_add_co_ci_u32_e64 v66, null, s3, 0, s1
	global_load_b64 v[75:76], v[65:66], off offset:560
	v_lshlrev_b16 v66, 3, v101
	v_lshlrev_b16 v65, 3, v102
	s_wait_loadcnt 0x1
	v_lshrrev_b32_e32 v217, 16, v81
	v_lshrrev_b32_e32 v215, 16, v82
	v_and_b32_e32 v69, 0xffff, v66
	v_lshlrev_b16 v66, 3, v43
	v_and_b32_e32 v65, 0xffff, v65
	s_delay_alu instid0(VALU_DEP_2) | instskip(SKIP_1) | instid1(VALU_DEP_3)
	v_and_b32_e32 v73, 0xffff, v66
	v_lshlrev_b16 v66, 3, v99
	v_add_co_u32 v65, s1, s2, v65
	s_delay_alu instid0(VALU_DEP_2)
	v_and_b32_e32 v74, 0xffff, v66
	s_wait_alu 0xf1ff
	v_add_co_ci_u32_e64 v66, null, s3, 0, s1
	v_add_co_u32 v69, s1, s2, v69
	s_wait_alu 0xf1ff
	v_add_co_ci_u32_e64 v70, null, s3, 0, s1
	global_load_b64 v[77:78], v[65:66], off offset:560
	v_add_co_u32 v103, s1, s2, v73
	s_wait_alu 0xf1ff
	v_add_co_ci_u32_e64 v104, null, s3, 0, s1
	v_add_co_u32 v65, s1, s2, v74
	s_wait_alu 0xf1ff
	v_add_co_ci_u32_e64 v66, null, s3, 0, s1
	s_clause 0x2
	global_load_b64 v[73:74], v[69:70], off offset:560
	global_load_b64 v[69:70], v[103:104], off offset:560
	;; [unrolled: 1-line block ×3, first 2 shown]
	global_wb scope:SCOPE_SE
	s_wait_loadcnt 0x0
	s_barrier_signal -1
	s_barrier_wait -1
	global_inv scope:SCOPE_SE
	ds_store_2addr_b32 v110, v89, v109 offset1:150
	v_lshrrev_b32_e32 v89, 16, v90
	v_lshrrev_b32_e32 v104, 16, v88
	s_delay_alu instid0(VALU_DEP_2) | instskip(NEXT) | instid1(VALU_DEP_2)
	v_mul_f16_e64 v103, v89, v217
	v_mul_f16_e64 v109, v104, v215
	s_delay_alu instid0(VALU_DEP_2) | instskip(SKIP_1) | instid1(VALU_DEP_3)
	v_fma_f16 v103, v90, v81, -v103
	v_mul_f16_e64 v90, v90, v217
	v_fma_f16 v109, v88, v82, -v109
	v_mul_f16_e64 v88, v88, v215
	s_delay_alu instid0(VALU_DEP_4) | instskip(NEXT) | instid1(VALU_DEP_4)
	v_add_f16_e32 v114, v86, v103
	v_fmac_f16_e32 v90, v89, v81
	s_delay_alu instid0(VALU_DEP_4) | instskip(NEXT) | instid1(VALU_DEP_4)
	v_add_f16_e32 v89, v103, v109
	v_fmac_f16_e32 v88, v104, v82
	v_lshrrev_b32_e32 v104, 16, v86
	v_add_f16_e32 v87, v114, v109
	s_delay_alu instid0(VALU_DEP_4) | instskip(NEXT) | instid1(VALU_DEP_4)
	v_fmac_f16_e32 v86, -0.5, v89
	v_add_f16_e32 v89, v90, v88
	s_delay_alu instid0(VALU_DEP_4) | instskip(NEXT) | instid1(VALU_DEP_2)
	v_add_f16_e32 v116, v104, v90
	v_fmac_f16_e32 v104, -0.5, v89
	v_sub_f16_e32 v89, v90, v88
	s_delay_alu instid0(VALU_DEP_3) | instskip(NEXT) | instid1(VALU_DEP_2)
	v_add_f16_e32 v88, v116, v88
	v_fmamk_f16 v90, v89, 0x3aee, v86
	v_fmac_f16_e32 v86, 0xbaee, v89
	v_sub_f16_e32 v89, v103, v109
	s_delay_alu instid0(VALU_DEP_4) | instskip(NEXT) | instid1(VALU_DEP_2)
	v_pack_b32_f16 v87, v87, v88
	v_fmamk_f16 v103, v89, 0xbaee, v104
	v_fmac_f16_e32 v104, 0x3aee, v89
	s_delay_alu instid0(VALU_DEP_2) | instskip(NEXT) | instid1(VALU_DEP_2)
	v_pack_b32_f16 v88, v90, v103
	v_pack_b32_f16 v86, v86, v104
	ds_store_b32 v110, v85 offset:1200
	ds_store_2addr_b32 v190, v87, v88 offset1:150
	v_lshrrev_b32_e32 v85, 16, v83
	v_lshrrev_b32_e32 v88, 16, v84
	;; [unrolled: 1-line block ×4, first 2 shown]
	ds_store_b32 v190, v86 offset:1200
	v_mul_f16_e64 v87, v85, v223
	v_mul_f16_e64 v89, v88, v224
	;; [unrolled: 1-line block ×4, first 2 shown]
	s_delay_alu instid0(VALU_DEP_4) | instskip(NEXT) | instid1(VALU_DEP_4)
	v_fma_f16 v87, v83, v71, -v87
	v_fma_f16 v89, v84, v67, -v89
	v_mul_f16_e64 v83, v83, v223
	v_mul_f16_e64 v84, v84, v224
	v_fma_f16 v107, v39, v68, -v107
	v_mul_f16_e64 v39, v39, v225
	v_fma_f16 v103, v38, v72, -v103
	v_fmac_f16_e32 v83, v85, v71
	v_fmac_f16_e32 v84, v88, v67
	v_add_f16_e32 v85, v89, v107
	v_fmac_f16_e32 v39, v104, v68
	v_lshrrev_b32_e32 v88, 16, v37
	v_add_f16_e32 v104, v37, v89
	v_mul_f16_e64 v38, v38, v226
	v_fmac_f16_e32 v37, -0.5, v85
	v_add_f16_e32 v85, v84, v39
	v_add_f16_e32 v108, v88, v84
	v_sub_f16_e32 v84, v84, v39
	v_fmac_f16_e32 v38, v90, v72
	s_delay_alu instid0(VALU_DEP_4) | instskip(NEXT) | instid1(VALU_DEP_3)
	v_fmac_f16_e32 v88, -0.5, v85
	v_fmamk_f16 v85, v84, 0x3aee, v37
	v_fmac_f16_e32 v37, 0xbaee, v84
	v_sub_f16_e32 v84, v89, v107
	v_add_f16_e32 v109, v83, v38
	s_delay_alu instid0(VALU_DEP_2) | instskip(SKIP_2) | instid1(VALU_DEP_2)
	v_fmamk_f16 v89, v84, 0xbaee, v88
	v_fmac_f16_e32 v88, 0x3aee, v84
	v_add_f16_e32 v84, v87, v103
	v_pack_b32_f16 v37, v37, v88
	v_lshrrev_b32_e32 v88, 16, v36
	s_delay_alu instid0(VALU_DEP_3) | instskip(SKIP_2) | instid1(VALU_DEP_4)
	v_fma_f16 v84, -0.5, v84, v36
	v_add_f16_e32 v36, v36, v87
	v_sub_f16_e32 v87, v87, v103
	v_add_f16_e32 v90, v88, v83
	v_sub_f16_e32 v83, v83, v38
	s_delay_alu instid0(VALU_DEP_4) | instskip(SKIP_1) | instid1(VALU_DEP_4)
	v_add_f16_e32 v36, v36, v103
	v_fmac_f16_e32 v88, -0.5, v109
	v_add_f16_e32 v38, v90, v38
	v_add_nc_u32_e32 v90, 0x600, v110
	s_delay_alu instid0(VALU_DEP_3) | instskip(SKIP_1) | instid1(VALU_DEP_4)
	v_fmamk_f16 v86, v87, 0xbaee, v88
	v_fmac_f16_e32 v88, 0x3aee, v87
	v_pack_b32_f16 v36, v36, v38
	v_fmamk_f16 v38, v83, 0x3aee, v84
	v_fmac_f16_e32 v84, 0xbaee, v83
	v_mad_u16 v83, 0x1c2, v105, v106
	s_delay_alu instid0(VALU_DEP_3)
	v_pack_b32_f16 v38, v38, v86
	ds_store_2addr_b32 v90, v36, v38 offset0:96 offset1:246
	v_add_f16_e32 v38, v108, v39
	v_pack_b32_f16 v39, v84, v88
	v_add_f16_e32 v36, v104, v107
	v_lshrrev_b32_e32 v84, 16, v26
	ds_store_b32 v110, v39 offset:3120
	v_and_b32_e32 v39, 0xffff, v83
	v_pack_b32_f16 v36, v36, v38
	v_pack_b32_f16 v38, v85, v89
	s_delay_alu instid0(VALU_DEP_3)
	v_lshlrev_b32_e32 v213, 2, v39
	v_lshrrev_b32_e32 v39, 16, v32
	ds_store_2addr_b32 v213, v36, v38 offset1:150
	v_lshrrev_b32_e32 v36, 16, v34
	ds_store_b32 v213, v37 offset:1200
	v_and_b32_e32 v37, 0xffff, v112
	s_delay_alu instid0(VALU_DEP_1) | instskip(NEXT) | instid1(VALU_DEP_1)
	v_lshlrev_b32_e32 v214, 2, v37
	v_add_nc_u32_e32 v37, 0xe00, v214
	v_lshrrev_b32_e32 v232, 16, v75
	v_lshrrev_b32_e32 v231, 16, v76
	s_delay_alu instid0(VALU_DEP_2) | instskip(NEXT) | instid1(VALU_DEP_2)
	v_mul_f16_e64 v38, v34, v232
	v_mul_f16_e64 v83, v32, v231
	s_delay_alu instid0(VALU_DEP_2) | instskip(NEXT) | instid1(VALU_DEP_2)
	v_fmac_f16_e32 v38, v36, v75
	v_fmac_f16_e32 v83, v39, v76
	v_mul_f16_e64 v36, v36, v232
	v_mul_f16_e64 v39, v39, v231
	s_delay_alu instid0(VALU_DEP_4) | instskip(NEXT) | instid1(VALU_DEP_4)
	v_add_f16_e32 v85, v84, v38
	v_sub_f16_e32 v86, v38, v83
	s_delay_alu instid0(VALU_DEP_4) | instskip(NEXT) | instid1(VALU_DEP_4)
	v_fma_f16 v34, v34, v75, -v36
	v_fma_f16 v32, v32, v76, -v39
	v_add_f16_e32 v38, v38, v83
	v_add_f16_e32 v83, v85, v83
	s_delay_alu instid0(VALU_DEP_4) | instskip(NEXT) | instid1(VALU_DEP_4)
	v_add_f16_e32 v36, v26, v34
	v_add_f16_e32 v39, v34, v32
	s_delay_alu instid0(VALU_DEP_4)
	v_fmac_f16_e32 v84, -0.5, v38
	v_lshrrev_b32_e32 v236, 16, v77
	v_lshrrev_b32_e32 v235, 16, v78
	v_add_f16_e32 v36, v36, v32
	v_sub_f16_e32 v32, v34, v32
	v_fma_f16 v26, -0.5, v39, v26
	s_delay_alu instid0(VALU_DEP_3) | instskip(NEXT) | instid1(VALU_DEP_3)
	v_pack_b32_f16 v34, v36, v83
	v_fmamk_f16 v38, v32, 0xbaee, v84
	s_delay_alu instid0(VALU_DEP_3)
	v_fmamk_f16 v36, v86, 0x3aee, v26
	v_lshrrev_b32_e32 v238, 16, v73
	v_lshrrev_b32_e32 v237, 16, v74
	v_fmac_f16_e32 v84, 0x3aee, v32
	v_fmac_f16_e32 v26, 0xbaee, v86
	v_pack_b32_f16 v36, v36, v38
	v_lshrrev_b32_e32 v240, 16, v69
	v_lshrrev_b32_e32 v239, 16, v70
	s_delay_alu instid0(VALU_DEP_4) | instskip(SKIP_3) | instid1(VALU_DEP_2)
	v_pack_b32_f16 v26, v26, v84
	ds_store_2addr_b32 v37, v34, v36 offset0:4 offset1:154
	v_lshrrev_b32_e32 v34, 16, v35
	v_lshrrev_b32_e32 v37, 16, v33
	v_mul_f16_e64 v36, v34, v236
	s_delay_alu instid0(VALU_DEP_2) | instskip(NEXT) | instid1(VALU_DEP_2)
	v_mul_f16_e64 v38, v37, v235
	v_fma_f16 v36, v35, v77, -v36
	v_mul_f16_e64 v35, v35, v236
	s_delay_alu instid0(VALU_DEP_3) | instskip(SKIP_1) | instid1(VALU_DEP_3)
	v_fma_f16 v38, v33, v78, -v38
	v_mul_f16_e64 v33, v33, v235
	v_fmac_f16_e32 v35, v34, v77
	v_add_f16_e32 v34, v27, v36
	s_delay_alu instid0(VALU_DEP_3) | instskip(SKIP_2) | instid1(VALU_DEP_4)
	v_fmac_f16_e32 v33, v37, v78
	v_add_f16_e32 v37, v36, v38
	v_sub_f16_e32 v36, v36, v38
	v_add_f16_e32 v34, v34, v38
	v_lshrrev_b32_e32 v38, 16, v27
	v_add_f16_e32 v83, v35, v33
	v_fmac_f16_e32 v27, -0.5, v37
	s_delay_alu instid0(VALU_DEP_3) | instskip(SKIP_1) | instid1(VALU_DEP_4)
	v_add_f16_e32 v39, v38, v35
	v_sub_f16_e32 v35, v35, v33
	v_fmac_f16_e32 v38, -0.5, v83
	s_delay_alu instid0(VALU_DEP_3) | instskip(NEXT) | instid1(VALU_DEP_2)
	v_add_f16_e32 v33, v39, v33
	v_fmamk_f16 v37, v36, 0xbaee, v38
	v_fmac_f16_e32 v38, 0x3aee, v36
	v_lshrrev_b32_e32 v36, 16, v22
	s_delay_alu instid0(VALU_DEP_4) | instskip(SKIP_3) | instid1(VALU_DEP_3)
	v_pack_b32_f16 v33, v34, v33
	v_fmamk_f16 v34, v35, 0x3aee, v27
	v_fmac_f16_e32 v27, 0xbaee, v35
	v_mul_f16_e64 v35, v24, v238
	v_pack_b32_f16 v34, v34, v37
	v_and_b32_e32 v37, 0xffff, v102
	s_delay_alu instid0(VALU_DEP_4) | instskip(SKIP_1) | instid1(VALU_DEP_3)
	v_pack_b32_f16 v27, v27, v38
	v_lshrrev_b32_e32 v38, 16, v20
	v_lshlrev_b32_e32 v216, 2, v37
	s_delay_alu instid0(VALU_DEP_1)
	v_add_nc_u32_e32 v37, 0x1400, v216
	ds_store_2addr_b32 v37, v33, v34 offset0:70 offset1:220
	v_lshrrev_b32_e32 v34, 16, v24
	v_mul_f16_e64 v37, v22, v237
	v_mad_u16 v33, 0x1c2, v100, v101
	ds_store_b32 v214, v26 offset:4800
	ds_store_b32 v216, v27 offset:6600
	v_lshrrev_b32_e32 v27, 16, v23
	v_fmac_f16_e32 v35, v34, v73
	v_mul_f16_e64 v32, v34, v238
	v_mul_f16_e64 v34, v36, v237
	v_fmac_f16_e32 v37, v36, v74
	v_and_b32_e32 v26, 0xffff, v33
	v_add_f16_e32 v39, v38, v35
	v_fma_f16 v24, v24, v73, -v32
	v_fma_f16 v22, v22, v74, -v34
	v_sub_f16_e32 v83, v35, v37
	v_add_f16_e32 v35, v35, v37
	v_add_f16_e32 v37, v39, v37
	;; [unrolled: 1-line block ×4, first 2 shown]
	v_lshlrev_b32_e32 v218, 2, v26
	v_fmac_f16_e32 v38, -0.5, v35
	s_delay_alu instid0(VALU_DEP_4) | instskip(SKIP_2) | instid1(VALU_DEP_3)
	v_add_f16_e32 v32, v32, v22
	v_sub_f16_e32 v22, v24, v22
	v_fma_f16 v20, -0.5, v34, v20
	v_pack_b32_f16 v24, v32, v37
	s_delay_alu instid0(VALU_DEP_3) | instskip(NEXT) | instid1(VALU_DEP_3)
	v_fmamk_f16 v34, v22, 0xbaee, v38
	v_fmamk_f16 v32, v83, 0x3aee, v20
	v_fmac_f16_e32 v20, 0xbaee, v83
	v_fmac_f16_e32 v38, 0x3aee, v22
	s_delay_alu instid0(VALU_DEP_3) | instskip(NEXT) | instid1(VALU_DEP_2)
	v_pack_b32_f16 v32, v32, v34
	v_pack_b32_f16 v20, v20, v38
	ds_store_2addr_b32 v218, v24, v32 offset1:150
	v_lshrrev_b32_e32 v24, 16, v25
	v_mul_f16_e64 v32, v27, v239
	ds_store_b32 v218, v20 offset:1200
	v_and_b32_e32 v20, 0xffff, v43
	v_mul_f16_e64 v26, v24, v240
	v_fma_f16 v32, v23, v70, -v32
	v_mul_f16_e64 v23, v23, v239
	s_delay_alu instid0(VALU_DEP_4) | instskip(NEXT) | instid1(VALU_DEP_4)
	v_lshlrev_b32_e32 v222, 2, v20
	v_fma_f16 v26, v25, v69, -v26
	v_mul_f16_e64 v25, v25, v240
	s_delay_alu instid0(VALU_DEP_4) | instskip(NEXT) | instid1(VALU_DEP_4)
	v_fmac_f16_e32 v23, v27, v70
	v_add_nc_u32_e32 v20, 0x1c00, v222
	s_delay_alu instid0(VALU_DEP_4) | instskip(NEXT) | instid1(VALU_DEP_4)
	v_add_f16_e32 v27, v26, v32
	v_fmac_f16_e32 v25, v24, v69
	v_add_f16_e32 v24, v21, v26
	v_sub_f16_e32 v26, v26, v32
	s_delay_alu instid0(VALU_DEP_3) | instskip(NEXT) | instid1(VALU_DEP_3)
	v_sub_f16_e32 v34, v25, v23
	v_add_f16_e32 v24, v24, v32
	v_lshrrev_b32_e32 v32, 16, v21
	v_fmac_f16_e32 v21, -0.5, v27
	s_delay_alu instid0(VALU_DEP_2) | instskip(SKIP_1) | instid1(VALU_DEP_2)
	v_add_f16_e32 v33, v32, v25
	v_add_f16_e32 v25, v25, v23
	v_add_f16_e32 v23, v33, v23
	s_delay_alu instid0(VALU_DEP_2) | instskip(NEXT) | instid1(VALU_DEP_2)
	v_fmac_f16_e32 v32, -0.5, v25
	v_pack_b32_f16 v22, v24, v23
	v_fmamk_f16 v23, v34, 0x3aee, v21
	s_delay_alu instid0(VALU_DEP_3) | instskip(SKIP_2) | instid1(VALU_DEP_3)
	v_fmamk_f16 v24, v26, 0xbaee, v32
	v_fmac_f16_e32 v21, 0xbaee, v34
	v_fmac_f16_e32 v32, 0x3aee, v26
	v_pack_b32_f16 v23, v23, v24
	s_delay_alu instid0(VALU_DEP_2)
	v_pack_b32_f16 v24, v21, v32
	v_lshrrev_b32_e32 v21, 16, v65
	ds_store_2addr_b32 v20, v22, v23 offset0:8 offset1:158
	v_lshrrev_b32_e32 v23, 16, v66
	ds_store_b32 v222, v24 offset:8400
	v_mul_f16_e32 v20, v96, v21
	v_mul_f16_e32 v22, v95, v21
	v_and_b32_e32 v24, 0xffff, v99
	v_mul_f16_e32 v21, v94, v23
	v_mul_f16_e32 v23, v93, v23
	v_fma_f16 v20, v95, v65, -v20
	v_fmac_f16_e32 v22, v96, v65
	scratch_store_b32 off, v24, off offset:36 ; 4-byte Folded Spill
	v_fma_f16 v21, v93, v66, -v21
	v_fmac_f16_e32 v23, v94, v66
	s_delay_alu instid0(VALU_DEP_2) | instskip(NEXT) | instid1(VALU_DEP_1)
	v_add_f16_e32 v25, v20, v21
	v_fma_f16 v43, -0.5, v25, v97
	s_delay_alu instid0(VALU_DEP_3) | instskip(NEXT) | instid1(VALU_DEP_1)
	v_sub_f16_e32 v25, v22, v23
	v_fmamk_f16 v84, v25, 0x3aee, v43
	v_fmac_f16_e32 v43, 0xbaee, v25
	v_add_f16_e32 v25, v22, v23
	s_delay_alu instid0(VALU_DEP_1) | instskip(SKIP_1) | instid1(VALU_DEP_1)
	v_fma_f16 v159, -0.5, v25, v98
	v_sub_f16_e32 v25, v20, v21
	v_fma_f16 v255, 0xbaee, v25, v159
	v_fmac_f16_e64 v159, 0x3aee, v25
	s_and_saveexec_b32 s1, s0
	s_cbranch_execz .LBB0_15
; %bb.14:
	scratch_load_b32 v24, off, off offset:36 ; 4-byte Folded Reload
	v_add_f16_e32 v22, v98, v22
	v_add_f16_e32 v20, v97, v20
	s_delay_alu instid0(VALU_DEP_2) | instskip(NEXT) | instid1(VALU_DEP_2)
	v_add_f16_e32 v22, v22, v23
	v_add_f16_e32 v20, v20, v21
	v_perm_b32 v21, v255, v84, 0x5040100
	s_delay_alu instid0(VALU_DEP_2) | instskip(SKIP_3) | instid1(VALU_DEP_1)
	v_pack_b32_f16 v20, v20, v22
	v_perm_b32 v22, v159, v43, 0x5040100
	s_wait_loadcnt 0x0
	v_lshlrev_b32_e32 v24, 2, v24
	v_add_nc_u32_e32 v23, 0x1c00, v24
	ds_store_2addr_b32 v23, v20, v21 offset0:8 offset1:158
	ds_store_b32 v24, v22 offset:8400
.LBB0_15:
	s_wait_alu 0xfffe
	s_or_b32 exec_lo, exec_lo, s1
	v_lshlrev_b32_e32 v20, 4, v142
	v_lshlrev_b32_e32 v24, 4, v92
	global_wb scope:SCOPE_SE
	s_wait_storecnt_dscnt 0x0
	s_barrier_signal -1
	s_barrier_wait -1
	global_inv scope:SCOPE_SE
	s_clause 0x1
	global_load_b128 v[20:23], v20, s[2:3] offset:1760
	global_load_b128 v[24:27], v24, s[2:3] offset:1760
	v_add_nc_u32_e32 v92, 0xc00, v110
	v_add_nc_u32_e32 v98, 0x1c00, v110
	ds_load_2addr_b32 v[85:86], v92 offset0:132 offset1:222
	ds_load_2addr_b32 v[87:88], v98 offset0:8 offset1:98
	v_lshlrev_b64_e32 v[28:29], 4, v[28:29]
	v_lshlrev_b64_e32 v[30:31], 4, v[30:31]
	v_add_nc_u32_e32 v96, 0x1400, v110
	v_add_nc_u32_e32 v93, 0x800, v110
	s_delay_alu instid0(VALU_DEP_4)
	v_add_co_u32 v28, s1, s2, v28
	s_wait_alu 0xf1ff
	v_add_co_ci_u32_e64 v29, s1, s3, v29, s1
	v_add_co_u32 v36, s1, s2, v30
	s_wait_alu 0xf1ff
	v_add_co_ci_u32_e64 v37, s1, s3, v31, s1
	ds_load_2addr_b32 v[38:39], v96 offset0:160 offset1:250
	s_wait_dscnt 0x2
	v_lshrrev_b32_e32 v30, 16, v85
	v_lshrrev_b32_e32 v31, 16, v86
	s_wait_dscnt 0x1
	v_lshrrev_b32_e32 v89, 16, v87
	v_lshrrev_b32_e32 v94, 16, v88
	s_wait_loadcnt 0x1
	v_lshrrev_b32_e32 v233, 16, v21
	s_wait_loadcnt 0x0
	v_lshrrev_b32_e32 v228, 16, v25
	v_lshrrev_b32_e32 v230, 16, v23
	v_lshrrev_b32_e32 v229, 16, v26
	v_lshrrev_b32_e32 v234, 16, v24
	v_mul_f16_e64 v32, v30, v233
	v_mul_f16_e64 v34, v31, v228
	;; [unrolled: 1-line block ×5, first 2 shown]
	v_fma_f16 v35, v85, v21, -v32
	v_fma_f16 v101, v86, v25, -v34
	v_mul_f16_e64 v32, v87, v230
	v_fma_f16 v34, v87, v23, -v95
	ds_load_2addr_b32 v[86:87], v93 offset0:28 offset1:118
	v_fmac_f16_e32 v33, v30, v21
	s_wait_dscnt 0x1
	v_lshrrev_b32_e32 v30, 16, v38
	v_fmac_f16_e32 v83, v31, v25
	v_mul_f16_e64 v103, v38, v229
	v_lshrrev_b32_e32 v227, 16, v27
	v_add_nc_u32_e32 v95, 0x400, v110
	v_lshrrev_b32_e32 v242, 16, v20
	v_fmac_f16_e32 v32, v89, v23
	v_fmac_f16_e32 v103, v30, v26
	v_mul_f16_e64 v30, v30, v229
	v_mul_f16_e64 v97, v94, v227
	;; [unrolled: 1-line block ×3, first 2 shown]
	v_lshrrev_b32_e32 v241, 16, v22
	s_delay_alu instid0(VALU_DEP_4) | instskip(NEXT) | instid1(VALU_DEP_4)
	v_fma_f16 v38, v38, v26, -v30
	v_fma_f16 v102, v88, v27, -v97
	s_delay_alu instid0(VALU_DEP_4)
	v_fmac_f16_e32 v100, v94, v27
	v_add_nc_u32_e32 v94, 0x1200, v110
	s_wait_dscnt 0x0
	v_lshrrev_b32_e32 v31, 16, v86
	v_mul_f16_e64 v104, v86, v234
	v_add_f16_e32 v85, v101, v38
	v_sub_f16_e32 v123, v101, v38
	s_delay_alu instid0(VALU_DEP_3) | instskip(SKIP_1) | instid1(VALU_DEP_2)
	v_fmac_f16_e32 v104, v31, v24
	v_mul_f16_e64 v31, v31, v234
	v_sub_f16_e32 v127, v104, v100
	s_delay_alu instid0(VALU_DEP_2)
	v_fma_f16 v105, v86, v24, -v31
	ds_load_2addr_b32 v[30:31], v110 offset1:90
	v_sub_f16_e32 v86, v38, v102
	v_sub_f16_e64 v136, v105, v102
	s_wait_dscnt 0x0
	v_fma_f16 v106, -0.5, v85, v31
	v_add_f16_e32 v85, v105, v102
	v_lshrrev_b32_e32 v97, 16, v31
	v_add_f16_e32 v99, v31, v105
	s_delay_alu instid0(VALU_DEP_3) | instskip(SKIP_1) | instid1(VALU_DEP_4)
	v_fmac_f16_e32 v31, -0.5, v85
	v_sub_f16_e32 v85, v101, v105
	v_add_f16_e32 v108, v97, v104
	s_delay_alu instid0(VALU_DEP_2) | instskip(SKIP_2) | instid1(VALU_DEP_2)
	v_add_f16_e32 v109, v85, v86
	v_add_f16_e32 v85, v83, v103
	v_sub_f16_e32 v86, v103, v100
	v_fma_f16 v107, -0.5, v85, v97
	v_add_f16_e32 v85, v104, v100
	s_delay_alu instid0(VALU_DEP_1) | instskip(SKIP_1) | instid1(VALU_DEP_2)
	v_fmac_f16_e32 v97, -0.5, v85
	v_sub_f16_e32 v85, v83, v104
	v_fmamk_f16 v125, v123, 0x3b9c, v97
	s_delay_alu instid0(VALU_DEP_2) | instskip(SKIP_3) | instid1(VALU_DEP_2)
	v_add_f16_e32 v112, v85, v86
	ds_load_2addr_b32 v[85:86], v95 offset0:104 offset1:194
	v_fmac_f16_e32 v97, 0xbb9c, v123
	v_fmac_f16_e64 v125, 0xb8b4, v136
	v_fmac_f16_e64 v97, 0x38b4, v136
	s_delay_alu instid0(VALU_DEP_2) | instskip(NEXT) | instid1(VALU_DEP_2)
	v_fmac_f16_e32 v125, 0x34f2, v112
	v_fmac_f16_e32 v97, 0x34f2, v112
	s_wait_dscnt 0x0
	v_lshrrev_b32_e32 v88, 16, v86
	v_mul_f16_e64 v114, v86, v242
	s_delay_alu instid0(VALU_DEP_2) | instskip(NEXT) | instid1(VALU_DEP_2)
	v_mul_f16_e64 v116, v88, v242
	v_fmac_f16_e32 v114, v88, v20
	ds_load_2addr_b32 v[88:89], v94 offset0:108 offset1:198
	v_fma_f16 v116, v86, v20, -v116
	v_sub_f16_e32 v86, v83, v103
	v_add_f16_e64 v144, v114, v32
	s_delay_alu instid0(VALU_DEP_3) | instskip(NEXT) | instid1(VALU_DEP_1)
	v_add_f16_e64 v130, v116, v34
	v_fma_f16 v130, -0.5, v130, v30
	s_wait_dscnt 0x0
	v_lshrrev_b32_e32 v118, 16, v89
	v_mul_f16_e64 v120, v89, v241
	s_delay_alu instid0(VALU_DEP_1) | instskip(SKIP_1) | instid1(VALU_DEP_2)
	v_fmac_f16_e32 v120, v118, v22
	v_mul_f16_e64 v118, v118, v241
	v_sub_f16_e64 v141, v32, v120
	s_delay_alu instid0(VALU_DEP_2) | instskip(SKIP_3) | instid1(VALU_DEP_4)
	v_fma_f16 v89, v89, v22, -v118
	v_fmamk_f16 v118, v86, 0xbb9c, v31
	v_fmac_f16_e32 v31, 0x3b9c, v86
	v_sub_f16_e64 v149, v120, v32
	v_add_f16_e64 v129, v35, v89
	v_sub_f16_e64 v133, v34, v89
	s_delay_alu instid0(VALU_DEP_4) | instskip(SKIP_3) | instid1(VALU_DEP_4)
	v_fmac_f16_e32 v31, 0xb8b4, v127
	v_sub_f16_e64 v134, v89, v34
	v_fmac_f16_e32 v118, 0x38b4, v127
	v_fma_f16 v129, -0.5, v129, v30
	v_fmac_f16_e32 v31, 0x34f2, v109
	s_delay_alu instid0(VALU_DEP_3) | instskip(NEXT) | instid1(VALU_DEP_2)
	v_fmac_f16_e32 v118, 0x34f2, v109
	v_pack_b32_f16 v139, v31, v97
	v_lshrrev_b32_e32 v31, 16, v30
	v_add_f16_e32 v30, v30, v116
	v_sub_f16_e32 v97, v116, v35
	s_delay_alu instid0(VALU_DEP_3) | instskip(NEXT) | instid1(VALU_DEP_3)
	v_add_f16_e64 v146, v31, v114
	v_add_f16_e32 v30, v30, v35
	s_delay_alu instid0(VALU_DEP_3)
	v_add_f16_e64 v97, v97, v133
	v_sub_f16_e64 v133, v35, v116
	v_sub_f16_e32 v35, v35, v89
	v_sub_f16_e32 v116, v116, v34
	v_add_f16_e32 v30, v30, v89
	v_add_f16_e64 v89, v146, v33
	v_add_f16_e64 v133, v133, v134
	v_sub_f16_e64 v134, v114, v33
	s_delay_alu instid0(VALU_DEP_4) | instskip(SKIP_2) | instid1(VALU_DEP_4)
	v_add_f16_e32 v30, v30, v34
	v_sub_f16_e32 v34, v114, v32
	v_add_f16_e32 v89, v89, v120
	v_add_f16_e64 v134, v134, v141
	v_add_f16_e64 v141, v33, v120
	s_delay_alu instid0(VALU_DEP_3) | instskip(SKIP_1) | instid1(VALU_DEP_3)
	v_add_f16_e32 v32, v89, v32
	v_add_nc_u32_e32 v89, 0x1e00, v110
	v_fma_f16 v141, -0.5, v141, v31
	v_fmac_f16_e64 v31, -0.5, v144
	v_sub_f16_e64 v144, v33, v114
	v_sub_f16_e32 v33, v33, v120
	v_fma_f16 v114, 0x3b9c, v34, v129
	v_fmac_f16_e64 v129, 0xbb9c, v34
	v_pack_b32_f16 v30, v30, v32
	v_add_f16_e32 v32, v99, v101
	v_fma_f16 v120, 0xbb9c, v33, v130
	v_fmac_f16_e64 v130, 0x3b9c, v33
	v_fmac_f16_e32 v114, 0x38b4, v33
	v_fmac_f16_e64 v129, 0xb8b4, v33
	v_fma_f16 v33, 0xbb9c, v116, v141
	v_fmac_f16_e64 v141, 0x3b9c, v116
	v_fmac_f16_e32 v120, 0x38b4, v34
	v_fmac_f16_e64 v130, 0xb8b4, v34
	v_fmamk_f16 v34, v35, 0x3b9c, v31
	v_fmac_f16_e32 v31, 0xbb9c, v35
	v_fmac_f16_e32 v33, 0xb8b4, v35
	v_fmac_f16_e64 v141, 0x38b4, v35
	v_add_f16_e32 v35, v108, v83
	v_add_f16_e64 v144, v144, v149
	v_fmac_f16_e32 v34, 0xb8b4, v116
	v_add_f16_e32 v32, v32, v38
	v_fmac_f16_e32 v31, 0x38b4, v116
	v_add_f16_e32 v35, v35, v103
	v_fmac_f16_e32 v114, 0x34f2, v97
	v_fmac_f16_e64 v33, 0x34f2, v134
	v_fmac_f16_e64 v120, 0x34f2, v133
	;; [unrolled: 1-line block ×3, first 2 shown]
	v_add_f16_e32 v32, v32, v102
	v_add_f16_e32 v35, v35, v100
	v_fmac_f16_e64 v130, 0x34f2, v133
	v_fmac_f16_e64 v31, 0x34f2, v144
	;; [unrolled: 1-line block ×4, first 2 shown]
	v_pack_b32_f16 v33, v114, v33
	v_add_nc_u32_e32 v97, 0x200, v110
	v_pack_b32_f16 v32, v32, v35
	v_pack_b32_f16 v34, v120, v34
	;; [unrolled: 1-line block ×3, first 2 shown]
	v_add_nc_u32_e32 v99, 0x1000, v110
	v_pack_b32_f16 v35, v129, v141
	v_add_nc_u32_e32 v114, 0xa00, v110
	ds_load_2addr_b32 v[129:130], v97 offset0:52 offset1:142
	ds_store_b32 v110, v33 offset:1800
	ds_store_b32 v110, v34 offset:3600
	;; [unrolled: 1-line block ×4, first 2 shown]
	v_add_nc_u32_e32 v108, 0x1800, v110
	ds_load_b32 v116, v110 offset:8640
	ds_load_2addr_b32 v[133:134], v99 offset0:56 offset1:146
	ds_load_2addr_b32 v[149:150], v89 offset0:60 offset1:150
	;; [unrolled: 1-line block ×4, first 2 shown]
	ds_store_2addr_b32 v110, v30, v32 offset1:90
	v_lshlrev_b32_e32 v32, 4, v91
	s_clause 0x1
	global_load_b128 v[28:31], v[28:29], off offset:1760
	global_load_b128 v[32:35], v32, s[2:3] offset:1760
	v_lshrrev_b32_e32 v91, 16, v87
	v_sub_f16_e32 v38, v102, v38
	v_sub_f16_e32 v83, v104, v83
	;; [unrolled: 1-line block ×3, first 2 shown]
	s_add_nc_u64 s[2:3], s[12:13], 0x2328
	s_wait_dscnt 0xa
	v_lshrrev_b32_e32 v168, 16, v130
	s_wait_dscnt 0x1
	v_lshrrev_b32_e32 v158, 16, v154
	s_wait_loadcnt 0x1
	v_lshrrev_b32_e32 v252, 16, v29
	s_wait_loadcnt 0x0
	v_lshrrev_b32_e32 v244, 16, v32
	v_lshrrev_b32_e32 v243, 16, v34
	;; [unrolled: 1-line block ×5, first 2 shown]
	v_mul_f16_e64 v120, v91, v244
	v_mul_f16_e64 v141, v87, v244
	;; [unrolled: 1-line block ×3, first 2 shown]
	v_lshrrev_b32_e32 v253, 16, v28
	v_lshrrev_b32_e32 v254, 16, v30
	v_fma_f16 v120, v87, v32, -v120
	v_lshrrev_b32_e32 v87, 16, v39
	v_fmac_f16_e64 v141, v91, v32
	v_mul_f16_e64 v91, v133, v246
	s_delay_alu instid0(VALU_DEP_3) | instskip(SKIP_2) | instid1(VALU_DEP_3)
	v_mul_f16_e64 v144, v87, v243
	v_fmac_f16_e64 v146, v87, v34
	v_lshrrev_b32_e32 v87, 16, v149
	v_fma_f16 v144, v39, v34, -v144
	v_sub_f16_e32 v39, v105, v101
	v_lshrrev_b32_e32 v105, 16, v129
	s_delay_alu instid0(VALU_DEP_2) | instskip(SKIP_3) | instid1(VALU_DEP_2)
	v_add_f16_e32 v38, v39, v38
	v_add_f16_e32 v39, v83, v100
	v_lshrrev_b32_e32 v83, 16, v133
	v_mul_f16_e64 v100, v149, v245
	v_fmac_f16_e32 v91, v83, v33
	v_mul_f16_e64 v83, v83, v246
	s_delay_alu instid0(VALU_DEP_3) | instskip(SKIP_1) | instid1(VALU_DEP_4)
	v_fmac_f16_e32 v100, v87, v35
	v_mul_f16_e64 v87, v87, v245
	v_sub_f16_e64 v109, v91, v146
	s_delay_alu instid0(VALU_DEP_4) | instskip(NEXT) | instid1(VALU_DEP_3)
	v_fma_f16 v101, v133, v33, -v83
	v_fma_f16 v102, v149, v35, -v87
	s_delay_alu instid0(VALU_DEP_2) | instskip(NEXT) | instid1(VALU_DEP_2)
	v_sub_f16_e32 v83, v120, v101
	v_sub_f16_e64 v87, v102, v144
	s_delay_alu instid0(VALU_DEP_1) | instskip(SKIP_4) | instid1(VALU_DEP_4)
	v_add_f16_e32 v103, v83, v87
	v_fmamk_f16 v83, v127, 0x3b9c, v106
	v_fmac_f16_e32 v106, 0xbb9c, v127
	v_add_f16_e64 v87, v91, v146
	v_mul_f16_e64 v127, v134, v252
	v_fmac_f16_e32 v83, 0x38b4, v86
	s_delay_alu instid0(VALU_DEP_4) | instskip(SKIP_2) | instid1(VALU_DEP_4)
	v_fmac_f16_e32 v106, 0xb8b4, v86
	v_fma_f16 v86, 0xbb9c, v136, v107
	v_fmac_f16_e64 v107, 0x3b9c, v136
	v_fmac_f16_e32 v83, 0x34f2, v38
	s_delay_alu instid0(VALU_DEP_4) | instskip(NEXT) | instid1(VALU_DEP_4)
	v_fmac_f16_e32 v106, 0x34f2, v38
	v_fmac_f16_e32 v86, 0xb8b4, v123
	s_delay_alu instid0(VALU_DEP_4) | instskip(SKIP_2) | instid1(VALU_DEP_4)
	v_fmac_f16_e32 v107, 0x38b4, v123
	v_sub_f16_e64 v38, v141, v91
	v_sub_f16_e64 v123, v101, v144
	v_fmac_f16_e32 v86, 0x34f2, v39
	s_delay_alu instid0(VALU_DEP_4) | instskip(SKIP_1) | instid1(VALU_DEP_3)
	v_fmac_f16_e32 v107, 0x34f2, v39
	v_sub_f16_e64 v39, v100, v146
	v_pack_b32_f16 v83, v83, v86
	v_add_f16_e64 v86, v101, v144
	s_delay_alu instid0(VALU_DEP_3)
	v_add_f16_e32 v104, v38, v39
	v_pack_b32_f16 v38, v118, v125
	v_pack_b32_f16 v39, v106, v107
	v_fma_f16 v106, -0.5, v87, v105
	v_fma_f16 v86, -0.5, v86, v129
	v_sub_f16_e64 v107, v141, v100
	v_sub_f16_e32 v118, v120, v102
	s_delay_alu instid0(VALU_DEP_2) | instskip(NEXT) | instid1(VALU_DEP_2)
	v_fmamk_f16 v87, v107, 0x3b9c, v86
	v_fmamk_f16 v112, v118, 0xbb9c, v106
	v_fmac_f16_e32 v86, 0xbb9c, v107
	v_fmac_f16_e32 v106, 0x3b9c, v118
	s_delay_alu instid0(VALU_DEP_4) | instskip(NEXT) | instid1(VALU_DEP_4)
	v_fmac_f16_e32 v87, 0x38b4, v109
	v_fmac_f16_e32 v112, 0xb8b4, v123
	s_delay_alu instid0(VALU_DEP_4) | instskip(NEXT) | instid1(VALU_DEP_4)
	;; [unrolled: 3-line block ×4, first 2 shown]
	v_fmac_f16_e32 v86, 0x34f2, v103
	v_fmac_f16_e32 v106, 0x34f2, v104
	s_delay_alu instid0(VALU_DEP_3)
	v_pack_b32_f16 v87, v87, v112
	ds_store_b32 v110, v38 offset:3960
	ds_store_b32 v110, v139 offset:5760
	;; [unrolled: 1-line block ×3, first 2 shown]
	ds_store_2addr_b32 v93, v83, v87 offset0:28 offset1:118
	v_lshrrev_b32_e32 v83, 16, v134
	v_lshrrev_b32_e32 v87, 16, v150
	;; [unrolled: 1-line block ×4, first 2 shown]
	v_pack_b32_f16 v86, v86, v106
	v_mul_f16_e64 v38, v83, v252
	v_fmac_f16_e32 v127, v83, v29
	v_lshrrev_b32_e32 v83, 16, v116
	s_delay_alu instid0(VALU_DEP_3) | instskip(SKIP_2) | instid1(VALU_DEP_2)
	v_fma_f16 v125, v134, v29, -v38
	v_mul_f16_e64 v38, v87, v249
	v_mul_f16_e64 v134, v150, v249
	v_fma_f16 v133, v150, v31, -v38
	v_mul_f16_e64 v38, v112, v253
	v_mul_f16_e64 v150, v151, v253
	s_delay_alu instid0(VALU_DEP_4) | instskip(NEXT) | instid1(VALU_DEP_3)
	v_fmac_f16_e64 v134, v87, v31
	v_fma_f16 v136, v151, v28, -v38
	global_load_b128 v[36:39], v[36:37], off offset:1760
	v_fmac_f16_e64 v150, v112, v28
	v_sub_f16_e64 v172, v136, v133
	s_delay_alu instid0(VALU_DEP_2)
	v_sub_f16_e64 v170, v150, v134
	s_wait_loadcnt 0x0
	v_lshrrev_b32_e32 v250, 16, v36
	v_lshrrev_b32_e32 v251, 16, v37
	;; [unrolled: 1-line block ×4, first 2 shown]
	s_delay_alu instid0(VALU_DEP_4)
	v_mul_f16_e64 v149, v139, v250
	v_mul_f16_e64 v151, v152, v250
	;; [unrolled: 1-line block ×5, first 2 shown]
	v_fma_f16 v149, v152, v36, -v149
	v_lshrrev_b32_e32 v152, 16, v88
	v_fmac_f16_e64 v151, v139, v36
	v_mul_f16_e64 v139, v116, v247
	v_fma_f16 v160, v154, v38, -v160
	v_mul_f16_e64 v154, v154, v248
	v_mul_f16_e64 v155, v152, v251
	v_fmac_f16_e64 v156, v152, v37
	v_fmac_f16_e64 v139, v83, v39
	v_sub_f16_e64 v83, v136, v125
	v_fmac_f16_e64 v154, v158, v38
	v_fma_f16 v155, v88, v37, -v155
	v_lshrrev_b32_e32 v88, 16, v153
	v_sub_f16_e64 v175, v151, v139
	s_delay_alu instid0(VALU_DEP_4) | instskip(NEXT) | instid1(VALU_DEP_4)
	v_sub_f16_e64 v176, v156, v154
	v_sub_f16_e64 v178, v155, v160
	s_delay_alu instid0(VALU_DEP_4) | instskip(SKIP_1) | instid1(VALU_DEP_2)
	v_mul_f16_e64 v157, v88, v254
	v_sub_f16_e64 v103, v154, v139
	v_fma_f16 v157, v153, v30, -v157
	v_mul_f16_e64 v153, v153, v254
	s_delay_alu instid0(VALU_DEP_2) | instskip(NEXT) | instid1(VALU_DEP_2)
	v_sub_f16_e64 v173, v125, v157
	v_fmac_f16_e64 v153, v88, v30
	v_fma_f16 v88, v116, v39, -v87
	v_sub_f16_e64 v87, v133, v157
	s_delay_alu instid0(VALU_DEP_3) | instskip(NEXT) | instid1(VALU_DEP_3)
	v_sub_f16_e64 v171, v127, v153
	v_sub_f16_e64 v112, v88, v160
	s_delay_alu instid0(VALU_DEP_3) | instskip(SKIP_3) | instid1(VALU_DEP_2)
	v_add_f16_e64 v152, v83, v87
	v_sub_f16_e64 v83, v150, v127
	v_sub_f16_e64 v87, v134, v153
	;; [unrolled: 1-line block ×3, first 2 shown]
	v_add_f16_e64 v158, v83, v87
	v_sub_f16_e64 v87, v149, v155
	v_add_f16_e64 v83, v155, v160
	s_delay_alu instid0(VALU_DEP_2) | instskip(SKIP_2) | instid1(VALU_DEP_4)
	v_add_f16_e64 v161, v87, v112
	v_sub_f16_e64 v87, v151, v156
	v_sub_f16_e64 v112, v139, v154
	v_fma_f16 v83, -0.5, v83, v85
	s_delay_alu instid0(VALU_DEP_2) | instskip(SKIP_1) | instid1(VALU_DEP_1)
	v_add_f16_e64 v220, v87, v112
	v_add_f16_e64 v87, v125, v157
	v_fma_f16 v221, -0.5, v87, v130
	v_add_f16_e64 v87, v127, v153
	s_delay_alu instid0(VALU_DEP_1) | instskip(NEXT) | instid1(VALU_DEP_3)
	v_fma_f16 v169, -0.5, v87, v168
	v_fma_f16 v87, 0x3b9c, v170, v221
	v_fmac_f16_e64 v221, 0xbb9c, v170
	s_delay_alu instid0(VALU_DEP_3) | instskip(NEXT) | instid1(VALU_DEP_3)
	v_fma_f16 v112, 0xbb9c, v172, v169
	v_fmac_f16_e64 v87, 0x38b4, v171
	v_fmac_f16_e64 v169, 0x3b9c, v172
	s_delay_alu instid0(VALU_DEP_4) | instskip(NEXT) | instid1(VALU_DEP_4)
	v_fmac_f16_e64 v221, 0xb8b4, v171
	v_fmac_f16_e64 v112, 0xb8b4, v173
	s_delay_alu instid0(VALU_DEP_4) | instskip(NEXT) | instid1(VALU_DEP_4)
	;; [unrolled: 3-line block ×3, first 2 shown]
	v_fmac_f16_e64 v221, 0x34f2, v152
	v_fmac_f16_e64 v112, 0x34f2, v158
	s_delay_alu instid0(VALU_DEP_3) | instskip(NEXT) | instid1(VALU_DEP_2)
	v_fmac_f16_e64 v169, 0x34f2, v158
	v_pack_b32_f16 v174, v87, v112
	v_lshrrev_b32_e32 v112, 16, v85
	v_add_f16_e64 v87, v156, v154
	s_delay_alu instid0(VALU_DEP_1) | instskip(SKIP_2) | instid1(VALU_DEP_3)
	v_fma_f16 v116, -0.5, v87, v112
	v_fma_f16 v87, 0x3b9c, v175, v83
	v_fmac_f16_e64 v83, 0xbb9c, v175
	v_fma_f16 v219, 0xbb9c, v177, v116
	s_delay_alu instid0(VALU_DEP_3) | instskip(SKIP_1) | instid1(VALU_DEP_4)
	v_fmac_f16_e64 v87, 0x38b4, v176
	v_fmac_f16_e64 v116, 0x3b9c, v177
	v_fmac_f16_e64 v83, 0xb8b4, v176
	s_delay_alu instid0(VALU_DEP_4) | instskip(NEXT) | instid1(VALU_DEP_4)
	v_fmac_f16_e64 v219, 0xb8b4, v178
	v_fmac_f16_e64 v87, 0x34f2, v161
	s_delay_alu instid0(VALU_DEP_4) | instskip(NEXT) | instid1(VALU_DEP_4)
	v_fmac_f16_e64 v116, 0x38b4, v178
	v_fmac_f16_e64 v83, 0x34f2, v161
	s_delay_alu instid0(VALU_DEP_4) | instskip(NEXT) | instid1(VALU_DEP_3)
	v_fmac_f16_e64 v219, 0x34f2, v220
	v_fmac_f16_e64 v116, 0x34f2, v220
	s_delay_alu instid0(VALU_DEP_2) | instskip(SKIP_2) | instid1(VALU_DEP_1)
	v_pack_b32_f16 v179, v87, v219
	ds_store_2addr_b32 v114, v174, v179 offset0:80 offset1:170
	v_add_f16_e64 v114, v130, v136
	v_add_f16_e32 v114, v114, v125
	v_sub_f16_e64 v125, v125, v136
	v_add_f16_e64 v136, v136, v133
	s_delay_alu instid0(VALU_DEP_3) | instskip(NEXT) | instid1(VALU_DEP_2)
	v_add_f16_e64 v114, v114, v157
	v_fmac_f16_e64 v130, -0.5, v136
	v_sub_f16_e64 v136, v157, v133
	v_add_f16_e64 v157, v120, v102
	s_delay_alu instid0(VALU_DEP_4) | instskip(NEXT) | instid1(VALU_DEP_3)
	v_add_f16_e64 v114, v114, v133
	v_add_f16_e64 v125, v125, v136
	;; [unrolled: 1-line block ×3, first 2 shown]
	s_delay_alu instid0(VALU_DEP_4) | instskip(SKIP_1) | instid1(VALU_DEP_3)
	v_fma_f16 v157, -0.5, v157, v129
	v_add_f16_e64 v129, v129, v120
	v_add_f16_e64 v136, v136, v127
	v_sub_f16_e64 v127, v127, v150
	v_add_f16_e64 v150, v150, v134
	s_delay_alu instid0(VALU_DEP_4) | instskip(SKIP_2) | instid1(VALU_DEP_4)
	v_add_f16_e64 v129, v129, v101
	v_sub_f16_e32 v101, v101, v120
	v_add_f16_e64 v136, v136, v153
	v_fmac_f16_e64 v168, -0.5, v150
	v_sub_f16_e64 v150, v153, v134
	v_add_f16_e64 v129, v129, v144
	s_delay_alu instid0(VALU_DEP_4)
	v_add_f16_e64 v133, v136, v134
	v_add_f16_e64 v134, v105, v141
	v_fma_f16 v153, 0x3b9c, v173, v168
	v_add_f16_e64 v127, v127, v150
	v_add_f16_e64 v129, v129, v102
	v_pack_b32_f16 v114, v114, v133
	v_add_f16_e64 v134, v134, v91
	v_sub_f16_e64 v102, v144, v102
	v_sub_f16_e64 v91, v91, v141
	v_fma_f16 v150, 0xbb9c, v171, v130
	v_fmac_f16_e64 v130, 0x3b9c, v171
	v_add_f16_e64 v134, v134, v146
	v_add_f16_e32 v101, v101, v102
	v_fmac_f16_e64 v168, 0xbb9c, v173
	v_fmac_f16_e64 v150, 0x38b4, v170
	;; [unrolled: 1-line block ×3, first 2 shown]
	v_add_f16_e64 v134, v134, v100
	v_fmac_f16_e64 v130, 0xb8b4, v170
	v_fmac_f16_e64 v168, 0x38b4, v172
	;; [unrolled: 1-line block ×4, first 2 shown]
	v_pack_b32_f16 v129, v129, v134
	v_fmac_f16_e64 v130, 0x34f2, v125
	v_fmac_f16_e64 v168, 0x34f2, v127
	ds_store_2addr_b32 v97, v129, v114 offset0:52 offset1:142
	v_add_f16_e64 v114, v141, v100
	v_sub_f16_e64 v100, v146, v100
	v_pack_b32_f16 v130, v130, v168
	s_delay_alu instid0(VALU_DEP_3) | instskip(NEXT) | instid1(VALU_DEP_3)
	v_fmac_f16_e32 v105, -0.5, v114
	v_add_f16_e32 v91, v91, v100
	v_fma_f16 v100, 0xbb9c, v109, v157
	v_fmac_f16_e64 v157, 0x3b9c, v109
	s_delay_alu instid0(VALU_DEP_4) | instskip(SKIP_1) | instid1(VALU_DEP_4)
	v_fmamk_f16 v102, v123, 0x3b9c, v105
	v_fmac_f16_e32 v105, 0xbb9c, v123
	v_fmac_f16_e32 v100, 0x38b4, v107
	s_delay_alu instid0(VALU_DEP_4) | instskip(NEXT) | instid1(VALU_DEP_4)
	v_fmac_f16_e64 v157, 0xb8b4, v107
	v_fmac_f16_e32 v102, 0xb8b4, v118
	s_delay_alu instid0(VALU_DEP_4) | instskip(NEXT) | instid1(VALU_DEP_4)
	v_fmac_f16_e32 v105, 0x38b4, v118
	v_fmac_f16_e32 v100, 0x34f2, v101
	s_delay_alu instid0(VALU_DEP_4) | instskip(SKIP_4) | instid1(VALU_DEP_3)
	v_fmac_f16_e64 v157, 0x34f2, v101
	v_sub_f16_e64 v101, v160, v88
	v_fmac_f16_e32 v102, 0x34f2, v91
	v_fmac_f16_e32 v105, 0x34f2, v91
	v_add_nc_u32_e32 v91, 0x1600, v110
	v_pack_b32_f16 v100, v100, v102
	v_pack_b32_f16 v102, v150, v153
	ds_store_2addr_b32 v99, v100, v102 offset0:56 offset1:146
	v_pack_b32_f16 v100, v157, v105
	v_add_f16_e64 v102, v112, v151
	ds_store_2addr_b32 v91, v100, v130 offset0:122 offset1:212
	v_pack_b32_f16 v100, v221, v169
	ds_store_2addr_b32 v89, v86, v100 offset0:60 offset1:150
	v_add_f16_e64 v86, v149, v88
	v_add_f16_e64 v100, v85, v149
	s_delay_alu instid0(VALU_DEP_2) | instskip(NEXT) | instid1(VALU_DEP_2)
	v_fmac_f16_e32 v85, -0.5, v86
	v_add_f16_e64 v86, v100, v155
	v_sub_f16_e64 v100, v155, v149
	s_delay_alu instid0(VALU_DEP_2) | instskip(NEXT) | instid1(VALU_DEP_2)
	v_add_f16_e64 v86, v86, v160
	v_add_f16_e32 v100, v100, v101
	v_add_f16_e64 v101, v151, v139
	s_delay_alu instid0(VALU_DEP_3) | instskip(SKIP_1) | instid1(VALU_DEP_3)
	v_add_f16_e32 v86, v86, v88
	v_fma_f16 v88, 0xbb9c, v176, v85
	v_fmac_f16_e32 v112, -0.5, v101
	v_add_f16_e64 v101, v102, v156
	v_sub_f16_e64 v102, v156, v151
	v_fmac_f16_e64 v85, 0x3b9c, v176
	v_fmac_f16_e64 v88, 0x38b4, v175
	v_fma_f16 v118, 0x3b9c, v178, v112
	v_fmac_f16_e64 v112, 0xbb9c, v178
	v_add_f16_e64 v101, v101, v154
	v_add_f16_e32 v102, v102, v103
	v_fmac_f16_e64 v85, 0xb8b4, v175
	v_fmac_f16_e64 v118, 0xb8b4, v177
	;; [unrolled: 1-line block ×3, first 2 shown]
	v_add_f16_e64 v114, v101, v139
	v_fmac_f16_e32 v88, 0x34f2, v100
	v_fmac_f16_e32 v85, 0x34f2, v100
	;; [unrolled: 1-line block ×4, first 2 shown]
	v_pack_b32_f16 v100, v86, v114
	s_delay_alu instid0(VALU_DEP_3)
	v_pack_b32_f16 v101, v88, v118
	ds_store_b32 v110, v100 offset:1440
	v_pack_b32_f16 v100, v85, v112
	ds_store_b32 v110, v101 offset:5040
	v_pack_b32_f16 v101, v83, v116
	ds_store_b32 v110, v100 offset:6840
	ds_store_b32 v110, v101 offset:8640
	global_wb scope:SCOPE_SE
	s_wait_dscnt 0x0
	s_barrier_signal -1
	s_barrier_wait -1
	global_inv scope:SCOPE_SE
	s_clause 0x2
	global_load_b32 v102, v[40:41], off offset:9000
	global_load_b32 v107, v110, s[2:3] offset:360
	global_load_b32 v109, v110, s[2:3] offset:900
	ds_load_2addr_b32 v[100:101], v110 offset1:90
	s_wait_dscnt 0x0
	v_lshrrev_b32_e32 v104, 16, v100
	s_wait_loadcnt 0x2
	v_lshrrev_b32_e32 v103, 16, v102
	s_delay_alu instid0(VALU_DEP_1) | instskip(NEXT) | instid1(VALU_DEP_3)
	v_mul_f16_e32 v105, v100, v103
	v_mul_f16_e32 v103, v104, v103
	s_delay_alu instid0(VALU_DEP_2) | instskip(NEXT) | instid1(VALU_DEP_2)
	v_fmac_f16_e32 v105, v104, v102
	v_fma_f16 v100, v100, v102, -v103
	s_delay_alu instid0(VALU_DEP_1)
	v_pack_b32_f16 v100, v100, v105
	ds_store_b32 v110, v100
	s_clause 0x2
	global_load_b32 v100, v110, s[2:3] offset:1800
	global_load_b32 v120, v110, s[2:3] offset:2160
	;; [unrolled: 1-line block ×3, first 2 shown]
	ds_load_2addr_b32 v[102:103], v90 offset0:66 offset1:156
	s_wait_dscnt 0x0
	v_lshrrev_b32_e32 v104, 16, v102
	s_wait_loadcnt 0x2
	v_lshrrev_b32_e32 v90, 16, v100
	s_wait_loadcnt 0x0
	v_lshrrev_b32_e32 v125, 16, v106
	s_delay_alu instid0(VALU_DEP_2) | instskip(SKIP_1) | instid1(VALU_DEP_2)
	v_mul_f16_e32 v123, v102, v90
	v_mul_f16_e32 v90, v104, v90
	v_fmac_f16_e32 v123, v104, v100
	ds_load_2addr_b32 v[104:105], v97 offset0:97 offset1:187
	v_fma_f16 v90, v102, v100, -v90
	s_delay_alu instid0(VALU_DEP_1) | instskip(SKIP_3) | instid1(VALU_DEP_2)
	v_pack_b32_f16 v90, v90, v123
	s_wait_dscnt 0x0
	v_lshrrev_b32_e32 v127, 16, v105
	v_mul_f16_e64 v129, v105, v125
	v_mul_f16_e32 v125, v127, v125
	s_delay_alu instid0(VALU_DEP_2) | instskip(NEXT) | instid1(VALU_DEP_2)
	v_fmac_f16_e64 v129, v127, v106
	v_fma_f16 v100, v105, v106, -v125
	s_delay_alu instid0(VALU_DEP_1)
	v_pack_b32_f16 v100, v100, v129
	ds_store_2addr_b32 v95, v100, v90 offset0:59 offset1:194
	s_clause 0x7
	global_load_b32 v90, v110, s[2:3] offset:3600
	global_load_b32 v95, v110, s[2:3] offset:3960
	;; [unrolled: 1-line block ×8, first 2 shown]
	ds_load_2addr_b32 v[105:106], v92 offset0:132 offset1:222
	s_clause 0x1
	global_load_b32 v139, v110, s[2:3] offset:3060
	global_load_b32 v141, v110, s[2:3] offset:2700
	s_wait_dscnt 0x0
	v_lshrrev_b32_e32 v130, 16, v105
	s_wait_loadcnt 0x9
	v_lshrrev_b32_e32 v129, 16, v90
	s_delay_alu instid0(VALU_DEP_1) | instskip(NEXT) | instid1(VALU_DEP_3)
	v_mul_f16_e64 v134, v105, v129
	v_mul_f16_e64 v136, v130, v129
	s_wait_loadcnt 0x1
	v_lshrrev_b32_e32 v144, 16, v139
	s_delay_alu instid0(VALU_DEP_3) | instskip(SKIP_2) | instid1(VALU_DEP_1)
	v_fmac_f16_e64 v134, v130, v90
	ds_load_2addr_b32 v[129:130], v93 offset0:163 offset1:253
	v_fma_f16 v90, v105, v90, -v136
	v_pack_b32_f16 v90, v90, v134
	s_wait_dscnt 0x0
	v_lshrrev_b32_e32 v146, 16, v130
	v_mul_f16_e64 v149, v130, v144
	s_delay_alu instid0(VALU_DEP_2) | instskip(NEXT) | instid1(VALU_DEP_2)
	v_mul_f16_e64 v144, v146, v144
	v_fmac_f16_e64 v149, v146, v139
	s_delay_alu instid0(VALU_DEP_2) | instskip(SKIP_1) | instid1(VALU_DEP_2)
	v_fma_f16 v105, v130, v139, -v144
	v_add_nc_u32_e32 v130, 0xb00, v110
	v_pack_b32_f16 v105, v105, v149
	ds_store_2addr_b32 v130, v105, v90 offset0:61 offset1:196
	v_lshrrev_b32_e32 v90, 16, v95
	v_lshrrev_b32_e32 v105, 16, v106
	s_delay_alu instid0(VALU_DEP_1) | instskip(SKIP_1) | instid1(VALU_DEP_2)
	v_mul_f16_e64 v130, v105, v90
	v_mul_f16_e32 v90, v106, v90
	v_fma_f16 v130, v106, v95, -v130
	s_delay_alu instid0(VALU_DEP_2)
	v_fmac_f16_e32 v90, v105, v95
	ds_load_2addr_b32 v[105:106], v99 offset0:101 offset1:191
	v_lshrrev_b32_e32 v95, 16, v100
	v_pack_b32_f16 v90, v130, v90
	s_wait_dscnt 0x0
	v_lshrrev_b32_e32 v134, 16, v105
	s_delay_alu instid0(VALU_DEP_3) | instskip(NEXT) | instid1(VALU_DEP_2)
	v_mul_f16_e64 v136, v105, v95
	v_mul_f16_e64 v95, v134, v95
	s_delay_alu instid0(VALU_DEP_2) | instskip(NEXT) | instid1(VALU_DEP_2)
	v_fmac_f16_e64 v136, v134, v100
	v_fma_f16 v95, v105, v100, -v95
	v_add_nc_u32_e32 v100, 0xe00, v110
	s_delay_alu instid0(VALU_DEP_2) | instskip(SKIP_3) | instid1(VALU_DEP_1)
	v_pack_b32_f16 v95, v95, v136
	ds_store_2addr_b32 v100, v90, v95 offset0:94 offset1:229
	v_lshrrev_b32_e32 v90, 16, v102
	v_lshrrev_b32_e32 v95, 16, v106
	v_mul_f16_e32 v100, v95, v90
	v_mul_f16_e32 v90, v106, v90
	s_delay_alu instid0(VALU_DEP_2) | instskip(SKIP_3) | instid1(VALU_DEP_2)
	v_fma_f16 v100, v106, v102, -v100
	ds_load_2addr_b32 v[105:106], v96 offset0:70 offset1:160
	v_fmac_f16_e32 v90, v95, v102
	v_lshrrev_b32_e32 v95, 16, v123
	v_pack_b32_f16 v90, v100, v90
	s_wait_dscnt 0x0
	v_lshrrev_b32_e32 v102, 16, v105
	s_delay_alu instid0(VALU_DEP_3) | instskip(NEXT) | instid1(VALU_DEP_2)
	v_mul_f16_e64 v130, v105, v95
	v_mul_f16_e32 v95, v102, v95
	s_delay_alu instid0(VALU_DEP_2) | instskip(SKIP_1) | instid1(VALU_DEP_3)
	v_fmac_f16_e64 v130, v102, v123
	v_lshrrev_b32_e32 v102, 16, v127
	v_fma_f16 v95, v105, v123, -v95
	s_delay_alu instid0(VALU_DEP_1) | instskip(SKIP_3) | instid1(VALU_DEP_1)
	v_pack_b32_f16 v95, v95, v130
	ds_store_2addr_b32 v94, v90, v95 offset0:63 offset1:198
	v_lshrrev_b32_e32 v90, 16, v125
	v_lshrrev_b32_e32 v94, 16, v106
	v_mul_f16_e32 v95, v94, v90
	v_mul_f16_e32 v90, v106, v90
	s_delay_alu instid0(VALU_DEP_2) | instskip(NEXT) | instid1(VALU_DEP_2)
	v_fma_f16 v100, v106, v125, -v95
	v_fmac_f16_e32 v90, v94, v125
	ds_load_2addr_b32 v[94:95], v108 offset0:39 offset1:129
	v_pack_b32_f16 v90, v100, v90
	s_wait_dscnt 0x0
	v_lshrrev_b32_e32 v105, 16, v94
	v_mul_f16_e32 v106, v94, v102
	s_delay_alu instid0(VALU_DEP_2) | instskip(NEXT) | instid1(VALU_DEP_2)
	v_mul_f16_e32 v102, v105, v102
	v_fmac_f16_e32 v106, v105, v127
	s_delay_alu instid0(VALU_DEP_2) | instskip(NEXT) | instid1(VALU_DEP_1)
	v_fma_f16 v94, v94, v127, -v102
	v_pack_b32_f16 v94, v94, v106
	ds_store_2addr_b32 v91, v90, v94 offset0:32 offset1:167
	v_lshrrev_b32_e32 v90, 16, v133
	v_lshrrev_b32_e32 v91, 16, v95
	s_delay_alu instid0(VALU_DEP_2) | instskip(NEXT) | instid1(VALU_DEP_2)
	v_mul_f16_e32 v100, v95, v90
	v_mul_f16_e32 v94, v91, v90
	s_delay_alu instid0(VALU_DEP_2) | instskip(NEXT) | instid1(VALU_DEP_2)
	v_fmac_f16_e64 v100, v91, v133
	v_fma_f16 v94, v95, v133, -v94
	s_clause 0x3
	global_load_b32 v95, v110, s[2:3] offset:7200
	global_load_b32 v102, v110, s[2:3] offset:7560
	;; [unrolled: 1-line block ×4, first 2 shown]
	ds_load_2addr_b32 v[90:91], v98 offset0:8 offset1:98
	v_pack_b32_f16 v94, v94, v100
	v_lshrrev_b32_e32 v100, 16, v104
	s_wait_dscnt 0x0
	v_lshrrev_b32_e32 v125, 16, v90
	s_wait_loadcnt 0x3
	v_lshrrev_b32_e32 v123, 16, v95
	s_delay_alu instid0(VALU_DEP_1) | instskip(NEXT) | instid1(VALU_DEP_3)
	v_mul_f16_e32 v127, v90, v123
	v_mul_f16_e32 v123, v125, v123
	s_delay_alu instid0(VALU_DEP_2) | instskip(NEXT) | instid1(VALU_DEP_2)
	v_fmac_f16_e32 v127, v125, v95
	v_fma_f16 v90, v90, v95, -v123
	v_add_nc_u32_e32 v95, 0x1a00, v110
	s_delay_alu instid0(VALU_DEP_2) | instskip(SKIP_3) | instid1(VALU_DEP_1)
	v_pack_b32_f16 v90, v90, v127
	ds_store_2addr_b32 v95, v94, v90 offset0:1 offset1:136
	v_lshrrev_b32_e32 v90, 16, v101
	v_lshrrev_b32_e32 v94, 16, v107
	v_mul_f16_e32 v95, v90, v94
	v_mul_f16_e32 v94, v101, v94
	s_delay_alu instid0(VALU_DEP_2) | instskip(NEXT) | instid1(VALU_DEP_2)
	v_fma_f16 v95, v101, v107, -v95
	v_fmac_f16_e32 v94, v90, v107
	v_lshrrev_b32_e32 v90, 16, v109
	s_delay_alu instid0(VALU_DEP_2) | instskip(NEXT) | instid1(VALU_DEP_2)
	v_pack_b32_f16 v94, v95, v94
	v_mul_f16_e32 v107, v104, v90
	v_mul_f16_e32 v101, v100, v90
	v_lshrrev_b32_e32 v90, 16, v141
	s_delay_alu instid0(VALU_DEP_3) | instskip(SKIP_1) | instid1(VALU_DEP_4)
	v_fmac_f16_e32 v107, v100, v109
	v_lshrrev_b32_e32 v100, 16, v129
	v_fma_f16 v101, v104, v109, -v101
	s_delay_alu instid0(VALU_DEP_4) | instskip(NEXT) | instid1(VALU_DEP_3)
	v_mul_f16_e64 v109, v129, v90
	v_mul_f16_e32 v104, v100, v90
	v_lshrrev_b32_e32 v90, 16, v120
	s_delay_alu instid0(VALU_DEP_3) | instskip(SKIP_4) | instid1(VALU_DEP_4)
	v_fmac_f16_e64 v109, v100, v141
	v_lshrrev_b32_e32 v100, 16, v103
	v_pack_b32_f16 v95, v101, v107
	v_fma_f16 v104, v129, v141, -v104
	v_mul_f16_e32 v125, v103, v90
	v_mul_f16_e32 v123, v100, v90
	s_wait_loadcnt 0x2
	v_lshrrev_b32_e32 v90, 16, v102
	ds_store_2addr_b32 v110, v94, v95 offset0:90 offset1:225
	v_fmac_f16_e32 v125, v100, v120
	v_lshrrev_b32_e32 v100, 16, v91
	v_fma_f16 v103, v103, v120, -v123
	v_mul_f16_e32 v123, v91, v90
	v_pack_b32_f16 v94, v104, v109
	s_delay_alu instid0(VALU_DEP_4) | instskip(NEXT) | instid1(VALU_DEP_4)
	v_mul_f16_e32 v120, v100, v90
	v_pack_b32_f16 v95, v103, v125
	s_delay_alu instid0(VALU_DEP_4)
	v_fmac_f16_e32 v123, v100, v102
	s_wait_loadcnt 0x1
	v_lshrrev_b32_e32 v100, 16, v105
	v_fma_f16 v120, v91, v102, -v120
	ds_load_2addr_b32 v[90:91], v89 offset0:105 offset1:195
	ds_store_2addr_b32 v93, v95, v94 offset0:28 offset1:163
	v_pack_b32_f16 v94, v120, v123
	s_wait_dscnt 0x1
	v_lshrrev_b32_e32 v102, 16, v90
	v_mul_f16_e32 v127, v90, v100
	s_delay_alu instid0(VALU_DEP_2) | instskip(NEXT) | instid1(VALU_DEP_2)
	v_mul_f16_e32 v100, v102, v100
	v_fmac_f16_e32 v127, v102, v105
	v_lshrrev_b32_e32 v102, 16, v91
	s_delay_alu instid0(VALU_DEP_3) | instskip(SKIP_2) | instid1(VALU_DEP_2)
	v_fma_f16 v90, v90, v105, -v100
	s_wait_loadcnt 0x0
	v_lshrrev_b32_e32 v100, 16, v106
	v_pack_b32_f16 v90, v90, v127
	s_delay_alu instid0(VALU_DEP_2) | instskip(SKIP_4) | instid1(VALU_DEP_1)
	v_mul_f16_e32 v105, v102, v100
	v_mul_f16_e32 v100, v91, v100
	ds_store_2addr_b32 v98, v94, v90 offset0:98 offset1:233
	v_fma_f16 v91, v91, v106, -v105
	v_fmac_f16_e32 v100, v102, v106
	v_pack_b32_f16 v90, v91, v100
	ds_store_b32 v110, v90 offset:8460
	s_and_saveexec_b32 s1, vcc_lo
	s_cbranch_execz .LBB0_17
; %bb.16:
	s_wait_alu 0xfffe
	v_add_co_u32 v90, s2, s2, v110
	s_wait_alu 0xf1ff
	v_add_co_ci_u32_e64 v91, null, s3, 0, s2
	v_add_nc_u32_e32 v109, 0x280, v110
	s_clause 0x9
	global_load_b32 v94, v[90:91], off offset:720
	global_load_b32 v95, v[90:91], off offset:1620
	;; [unrolled: 1-line block ×10, first 2 shown]
	ds_load_2addr_b32 v[90:91], v109 offset0:20 offset1:245
	s_wait_dscnt 0x0
	v_lshrrev_b32_e32 v120, 16, v90
	v_lshrrev_b32_e32 v125, 16, v91
	s_wait_loadcnt 0x9
	v_lshrrev_b32_e32 v123, 16, v94
	s_wait_loadcnt 0x8
	v_lshrrev_b32_e32 v127, 16, v95
	s_delay_alu instid0(VALU_DEP_2) | instskip(SKIP_1) | instid1(VALU_DEP_3)
	v_mul_f16_e64 v129, v120, v123
	v_mul_f16_e32 v123, v90, v123
	v_mul_f16_e64 v130, v125, v127
	v_mul_f16_e32 v127, v91, v127
	s_wait_loadcnt 0x1
	v_lshrrev_b32_e32 v133, 16, v106
	v_fma_f16 v90, v90, v94, -v129
	v_fmac_f16_e32 v123, v120, v94
	v_fma_f16 v91, v91, v95, -v130
	v_fmac_f16_e32 v127, v125, v95
	v_add_nc_u32_e32 v94, 0x980, v110
	v_lshrrev_b32_e32 v95, 16, v100
	v_pack_b32_f16 v90, v90, v123
	v_lshrrev_b32_e32 v129, 16, v104
	v_pack_b32_f16 v91, v91, v127
	v_lshrrev_b32_e32 v130, 16, v105
	s_wait_loadcnt 0x0
	v_lshrrev_b32_e32 v134, 16, v107
	ds_store_2addr_b32 v109, v90, v91 offset0:20 offset1:245
	ds_load_2addr_b32 v[90:91], v94 offset0:22 offset1:247
	v_lshrrev_b32_e32 v109, 16, v101
	s_wait_dscnt 0x0
	v_lshrrev_b32_e32 v120, 16, v90
	v_lshrrev_b32_e32 v123, 16, v91
	v_mul_f16_e32 v125, v90, v95
	v_mul_f16_e32 v127, v91, v109
	s_delay_alu instid0(VALU_DEP_4) | instskip(NEXT) | instid1(VALU_DEP_4)
	v_mul_f16_e32 v95, v120, v95
	v_mul_f16_e32 v109, v123, v109
	s_delay_alu instid0(VALU_DEP_4) | instskip(NEXT) | instid1(VALU_DEP_4)
	v_fmac_f16_e32 v125, v120, v100
	v_fmac_f16_e32 v127, v123, v101
	v_add_nc_u32_e32 v120, 0x1780, v110
	v_fma_f16 v90, v90, v100, -v95
	v_fma_f16 v91, v91, v101, -v109
	v_add_nc_u32_e32 v109, 0x1080, v110
	v_add_nc_u32_e32 v123, 0x1e80, v110
	s_delay_alu instid0(VALU_DEP_4) | instskip(NEXT) | instid1(VALU_DEP_4)
	v_pack_b32_f16 v90, v90, v125
	v_pack_b32_f16 v91, v91, v127
	v_lshrrev_b32_e32 v125, 16, v102
	v_lshrrev_b32_e32 v127, 16, v103
	ds_store_2addr_b32 v94, v90, v91 offset0:22 offset1:247
	ds_load_2addr_b32 v[90:91], v109 offset0:24 offset1:249
	ds_load_2addr_b32 v[94:95], v120 offset0:26 offset1:251
	;; [unrolled: 1-line block ×3, first 2 shown]
	s_wait_dscnt 0x1
	v_lshrrev_b32_e32 v146, 16, v94
	v_lshrrev_b32_e32 v136, 16, v90
	;; [unrolled: 1-line block ×4, first 2 shown]
	s_wait_dscnt 0x0
	v_lshrrev_b32_e32 v152, 16, v100
	v_lshrrev_b32_e32 v154, 16, v101
	v_mul_f16_e64 v139, v90, v125
	v_mul_f16_e64 v144, v91, v127
	;; [unrolled: 1-line block ×12, first 2 shown]
	v_fmac_f16_e64 v139, v136, v102
	v_fmac_f16_e64 v144, v141, v103
	v_fma_f16 v90, v90, v102, -v125
	v_fma_f16 v91, v91, v103, -v127
	v_fmac_f16_e64 v149, v146, v104
	v_fmac_f16_e64 v151, v150, v105
	v_fma_f16 v94, v94, v104, -v129
	v_fma_f16 v95, v95, v105, -v130
	;; [unrolled: 4-line block ×3, first 2 shown]
	v_pack_b32_f16 v90, v90, v139
	v_pack_b32_f16 v91, v91, v144
	;; [unrolled: 1-line block ×6, first 2 shown]
	ds_store_2addr_b32 v109, v90, v91 offset0:24 offset1:249
	ds_store_2addr_b32 v120, v94, v95 offset0:26 offset1:251
	;; [unrolled: 1-line block ×3, first 2 shown]
.LBB0_17:
	s_wait_alu 0xfffe
	s_or_b32 exec_lo, exec_lo, s1
	v_add_nc_u32_e32 v94, 0x600, v110
	global_wb scope:SCOPE_SE
	s_wait_dscnt 0x0
	s_barrier_signal -1
	s_barrier_wait -1
	global_inv scope:SCOPE_SE
	ds_load_2addr_b32 v[100:101], v110 offset1:90
	ds_load_2addr_b32 v[90:91], v97 offset0:97 offset1:187
	ds_load_2addr_b32 v[104:105], v94 offset0:66 offset1:156
	;; [unrolled: 1-line block ×9, first 2 shown]
	s_and_saveexec_b32 s1, vcc_lo
	s_cbranch_execz .LBB0_19
; %bb.18:
	v_add_nc_u32_e32 v43, 0x280, v110
	v_add_nc_u32_e32 v44, 0x980, v110
	;; [unrolled: 1-line block ×4, first 2 shown]
	ds_load_2addr_b32 v[86:87], v43 offset0:20 offset1:245
	v_add_nc_u32_e32 v43, 0x1780, v110
	ds_load_2addr_b32 v[88:89], v44 offset0:22 offset1:247
	ds_load_2addr_b32 v[83:84], v45 offset0:24 offset1:249
	;; [unrolled: 1-line block ×4, first 2 shown]
	s_wait_dscnt 0x4
	v_lshrrev_b32_e32 v114, 16, v86
	v_lshrrev_b32_e32 v219, 16, v87
	s_wait_dscnt 0x3
	v_mov_b32_e32 v85, v89
	v_lshrrev_b32_e32 v118, 16, v88
	v_lshrrev_b32_e32 v112, 16, v89
	s_wait_dscnt 0x2
	v_lshrrev_b32_e32 v116, 16, v83
	v_lshrrev_b32_e32 v255, 16, v84
	s_wait_dscnt 0x1
	;; [unrolled: 3-line block ×3, first 2 shown]
	v_lshrrev_b32_e32 v164, 16, v45
	v_lshrrev_b32_e32 v163, 16, v46
.LBB0_19:
	s_wait_alu 0xfffe
	s_or_b32 exec_lo, exec_lo, s1
	s_wait_dscnt 0x1
	v_sub_f16_e32 v89, v106, v108
	v_sub_f16_e32 v120, v102, v104
	v_lshrrev_b32_e32 v136, 16, v102
	v_lshrrev_b32_e32 v139, 16, v106
	;; [unrolled: 1-line block ×4, first 2 shown]
	v_add_f16_e32 v120, v120, v89
	v_add_f16_e32 v89, v104, v108
	v_sub_f16_e64 v125, v136, v139
	v_add_f16_e64 v123, v136, v139
	v_sub_f16_e64 v127, v141, v144
	v_add_f16_e64 v130, v141, v144
	v_fma_f16 v89, -0.5, v89, v100
	v_sub_f16_e64 v133, v139, v144
	v_lshrrev_b32_e32 v153, 16, v92
	v_lshrrev_b32_e32 v154, 16, v96
	;; [unrolled: 1-line block ×3, first 2 shown]
	v_fma_f16 v129, 0x3b9c, v125, v89
	v_fmac_f16_e32 v89, 0xbb9c, v125
	s_wait_dscnt 0x0
	v_lshrrev_b32_e32 v158, 16, v98
	v_lshrrev_b32_e32 v155, 16, v90
	v_sub_f16_e64 v150, v92, v94
	v_fmac_f16_e64 v129, 0xb8b4, v127
	v_fmac_f16_e32 v89, 0x38b4, v127
	v_add_f16_e64 v149, v157, v158
	v_sub_f16_e64 v151, v154, v158
	v_sub_f16_e64 v139, v144, v139
	v_fmac_f16_e64 v129, 0x34f2, v120
	v_fmac_f16_e32 v89, 0x34f2, v120
	v_lshrrev_b32_e32 v120, 16, v100
	v_sub_f16_e64 v144, v104, v102
	v_sub_f16_e64 v156, v157, v158
	global_wb scope:SCOPE_SE
	s_barrier_signal -1
	v_fma_f16 v123, -0.5, v123, v120
	v_fmac_f16_e64 v120, -0.5, v130
	v_sub_f16_e64 v130, v136, v141
	v_sub_f16_e64 v136, v141, v136
	;; [unrolled: 1-line block ×3, first 2 shown]
	s_barrier_wait -1
	global_inv scope:SCOPE_SE
	v_add_f16_e64 v146, v130, v133
	v_sub_f16_e64 v130, v102, v106
	v_sub_f16_e64 v133, v104, v108
	v_add_f16_e64 v141, v144, v141
	v_add_f16_e64 v136, v136, v139
	v_sub_f16_e64 v139, v157, v153
	v_fma_f16 v134, 0xbb9c, v130, v120
	v_fmac_f16_e64 v120, 0x3b9c, v130
	v_sub_f16_e64 v144, v158, v154
	s_delay_alu instid0(VALU_DEP_3) | instskip(NEXT) | instid1(VALU_DEP_3)
	v_fmac_f16_e64 v134, 0x38b4, v133
	v_fmac_f16_e64 v120, 0xb8b4, v133
	s_delay_alu instid0(VALU_DEP_3) | instskip(SKIP_1) | instid1(VALU_DEP_4)
	v_add_f16_e64 v139, v139, v144
	v_add_f16_e64 v144, v92, v96
	v_fmac_f16_e64 v134, 0x34f2, v146
	s_delay_alu instid0(VALU_DEP_4) | instskip(SKIP_1) | instid1(VALU_DEP_4)
	v_fmac_f16_e64 v120, 0x34f2, v146
	v_add_f16_e64 v146, v153, v154
	v_fma_f16 v144, -0.5, v144, v90
	s_delay_alu instid0(VALU_DEP_2) | instskip(SKIP_2) | instid1(VALU_DEP_1)
	v_fma_f16 v146, -0.5, v146, v155
	v_fmac_f16_e64 v155, -0.5, v149
	v_sub_f16_e64 v149, v96, v98
	v_add_f16_e64 v150, v150, v149
	v_sub_f16_e64 v149, v153, v157
	s_delay_alu instid0(VALU_DEP_1) | instskip(SKIP_2) | instid1(VALU_DEP_2)
	v_add_f16_e64 v152, v149, v151
	v_sub_f16_e64 v149, v92, v96
	v_sub_f16_e64 v151, v94, v98
	v_fma_f16 v161, 0xbb9c, v149, v155
	v_fmac_f16_e64 v155, 0x3b9c, v149
	s_delay_alu instid0(VALU_DEP_2) | instskip(NEXT) | instid1(VALU_DEP_2)
	v_fmac_f16_e64 v161, 0x38b4, v151
	v_fmac_f16_e64 v155, 0xb8b4, v151
	s_delay_alu instid0(VALU_DEP_2) | instskip(NEXT) | instid1(VALU_DEP_2)
	v_fmac_f16_e64 v161, 0x34f2, v152
	v_fmac_f16_e64 v155, 0x34f2, v152
	v_add_f16_e64 v152, v94, v98
	s_delay_alu instid0(VALU_DEP_1) | instskip(SKIP_4) | instid1(VALU_DEP_4)
	v_fma_f16 v160, -0.5, v152, v90
	v_sub_f16_e64 v152, v153, v154
	v_sub_f16_e64 v153, v98, v96
	;; [unrolled: 1-line block ×3, first 2 shown]
	v_pk_add_f16 v90, v90, v94
	v_fma_f16 v168, 0x3b9c, v152, v160
	v_fmac_f16_e64 v160, 0xbb9c, v152
	s_delay_alu instid0(VALU_DEP_4)
	v_add_f16_e64 v157, v154, v153
	v_fma_f16 v154, 0xbb9c, v156, v144
	v_fma_f16 v153, 0x3b9c, v151, v146
	v_fmac_f16_e64 v168, 0xb8b4, v156
	v_fmac_f16_e64 v160, 0x38b4, v156
	;; [unrolled: 1-line block ×7, first 2 shown]
	v_mul_f16_e64 v150, 0xbb9c, v155
	v_mul_f16_e64 v155, 0xb4f2, v155
	v_fmac_f16_e64 v154, 0x34f2, v157
	v_fmac_f16_e64 v153, 0x34f2, v139
	;; [unrolled: 1-line block ×5, first 2 shown]
	v_mul_f16_e64 v160, 0xbb9c, v161
	v_mul_f16_e64 v161, 0x34f2, v161
	;; [unrolled: 1-line block ×3, first 2 shown]
	v_fmac_f16_e64 v146, 0xb8b4, v149
	v_add_f16_e64 v169, v120, v155
	v_fmac_f16_e64 v160, 0x34f2, v168
	v_fmac_f16_e64 v161, 0x3b9c, v168
	v_add_f16_e64 v168, v89, v150
	v_fmac_f16_e64 v144, 0x38b4, v152
	v_fmac_f16_e64 v146, 0x34f2, v139
	v_pk_add_f16 v90, v90, v92
	v_fmac_f16_e64 v158, 0x3a79, v154
	v_pack_b32_f16 v221, v168, v169
	v_add_f16_e64 v168, v129, v160
	v_add_f16_e64 v169, v134, v161
	v_sub_f16_e64 v129, v129, v160
	v_sub_f16_e64 v134, v134, v161
	v_fmac_f16_e64 v144, 0x34f2, v157
	v_mul_f16_e64 v139, 0xba79, v146
	v_pack_b32_f16 v220, v168, v169
	v_mul_f16_e64 v168, 0x38b4, v154
	v_fma_f16 v169, 0x3b9c, v133, v123
	v_fmac_f16_e64 v123, 0xbb9c, v133
	v_pk_add_f16 v90, v90, v96
	v_pack_b32_f16 v154, v129, v134
	v_fmac_f16_e64 v168, 0x3a79, v153
	v_add_f16_e64 v153, v102, v106
	v_fmac_f16_e64 v169, 0x38b4, v130
	v_fmac_f16_e64 v123, 0xb8b4, v130
	;; [unrolled: 1-line block ×3, first 2 shown]
	v_pk_add_f16 v90, v90, v98
	v_fma_f16 v160, -0.5, v153, v100
	v_pk_add_f16 v100, v100, v104
	v_fmac_f16_e64 v169, 0x34f2, v136
	v_fmac_f16_e64 v123, 0x34f2, v136
	v_mul_f16_e64 v136, 0xb8b4, v146
	v_fma_f16 v161, 0xbb9c, v127, v160
	v_fmac_f16_e64 v160, 0x3b9c, v127
	v_pk_add_f16 v100, v100, v102
	v_sub_f16_e64 v134, v169, v168
	v_fmac_f16_e64 v136, 0xba79, v144
	v_fmac_f16_e64 v161, 0xb8b4, v125
	;; [unrolled: 1-line block ×3, first 2 shown]
	v_pk_add_f16 v92, v100, v106
	v_add_f16_e64 v125, v169, v168
	v_sub_f16_e64 v89, v89, v150
	v_fmac_f16_e64 v161, 0x34f2, v141
	v_fmac_f16_e64 v160, 0x34f2, v141
	v_pk_add_f16 v92, v92, v108
	v_sub_f16_e64 v94, v120, v155
	v_sub_f16_e32 v96, v107, v109
	v_sub_f16_e64 v129, v161, v158
	v_add_f16_e64 v127, v161, v158
	v_sub_f16_e32 v98, v105, v109
	v_pack_b32_f16 v89, v89, v94
	v_sub_f16_e32 v94, v109, v107
	v_pack_b32_f16 v153, v129, v134
	v_pk_add_f16 v129, v92, v90
	v_pk_add_f16 v134, v92, v90 neg_lo:[0,1] neg_hi:[0,1]
	v_add_f16_e64 v90, v160, v136
	v_add_f16_e64 v92, v123, v139
	v_pack_b32_f16 v130, v127, v125
	v_lshrrev_b32_e32 v100, 16, v105
	v_sub_f16_e32 v102, v105, v103
	v_sub_f16_e32 v104, v103, v105
	v_pack_b32_f16 v133, v90, v92
	v_sub_f16_e64 v90, v160, v136
	v_sub_f16_e64 v92, v123, v139
	ds_store_2addr_b64 v167, v[129:130], v[220:221] offset1:1
	ds_store_2addr_b64 v167, v[133:134], v[153:154] offset0:2 offset1:3
	v_lshrrev_b32_e32 v106, 16, v103
	v_lshrrev_b32_e32 v125, 16, v99
	v_pack_b32_f16 v90, v90, v92
	v_add_f16_e32 v92, v105, v109
	v_sub_f16_e32 v127, v99, v97
	v_sub_f16_e64 v129, v97, v99
	v_lshrrev_b32_e32 v130, 16, v95
	ds_store_b64 v167, v[89:90] offset:32
	v_pk_add_f16 v89, v101, v105
	v_lshrrev_b32_e32 v90, 16, v109
	v_add_f16_e32 v105, v103, v107
	v_fma_f16 v108, -0.5, v92, v101
	v_add_f16_e32 v92, v104, v96
	v_pk_add_f16 v89, v89, v103
	v_sub_f16_e32 v103, v103, v107
	v_fma_f16 v105, -0.5, v105, v101
	v_lshrrev_b32_e32 v101, 16, v101
	v_add_f16_e32 v104, v100, v90
	v_pk_add_f16 v89, v89, v107
	v_lshrrev_b32_e32 v107, 16, v107
	v_sub_f16_e32 v120, v100, v90
	v_sub_f16_e64 v133, v95, v93
	v_add_f16_e64 v134, v93, v97
	v_pk_add_f16 v89, v89, v109
	v_add_f16_e32 v96, v106, v107
	v_lshrrev_b32_e32 v136, 16, v93
	v_sub_f16_e64 v139, v93, v97
	v_sub_f16_e64 v141, v107, v90
	v_fma_f16 v134, -0.5, v134, v91
	v_fma_f16 v96, -0.5, v96, v101
	v_fmac_f16_e32 v101, -0.5, v104
	v_sub_f16_e32 v104, v106, v107
	v_sub_f16_e64 v149, v130, v125
	v_add_f16_e32 v94, v102, v94
	v_sub_f16_e32 v90, v90, v107
	s_delay_alu instid0(VALU_DEP_4) | instskip(SKIP_1) | instid1(VALU_DEP_2)
	v_fmamk_f16 v109, v104, 0x3b9c, v108
	v_fmac_f16_e32 v108, 0xbb9c, v104
	v_fmac_f16_e32 v109, 0xb8b4, v120
	s_delay_alu instid0(VALU_DEP_2) | instskip(NEXT) | instid1(VALU_DEP_2)
	v_fmac_f16_e32 v108, 0x38b4, v120
	v_fmac_f16_e32 v109, 0x34f2, v92
	s_delay_alu instid0(VALU_DEP_2) | instskip(SKIP_1) | instid1(VALU_DEP_1)
	v_fmac_f16_e32 v108, 0x34f2, v92
	v_pk_add_f16 v92, v91, v95
	v_pk_add_f16 v92, v92, v93
	s_delay_alu instid0(VALU_DEP_1) | instskip(SKIP_1) | instid1(VALU_DEP_2)
	v_pk_add_f16 v92, v92, v97
	v_lshrrev_b32_e32 v97, 16, v97
	v_pk_add_f16 v123, v92, v99
	v_add_f16_e32 v92, v95, v99
	v_sub_f16_e32 v99, v95, v99
	v_sub_f16_e32 v95, v93, v95
	;; [unrolled: 1-line block ×3, first 2 shown]
	v_sub_f16_e64 v144, v97, v125
	v_fma_f16 v92, -0.5, v92, v91
	v_lshrrev_b32_e32 v91, 16, v91
	v_sub_f16_e32 v100, v100, v106
	v_add_f16_e64 v93, v93, v141
	v_fma_f16 v141, 0xbb9c, v103, v101
	v_fmac_f16_e32 v101, 0x3b9c, v103
	v_sub_f16_e64 v106, v130, v136
	v_add_f16_e32 v90, v100, v90
	v_add_f16_e64 v100, v133, v127
	v_fmac_f16_e64 v141, 0x38b4, v98
	v_fmac_f16_e32 v101, 0xb8b4, v98
	v_sub_f16_e32 v127, v84, v44
	s_delay_alu instid0(VALU_DEP_3) | instskip(NEXT) | instid1(VALU_DEP_3)
	v_fmac_f16_e64 v141, 0x34f2, v93
	v_fmac_f16_e32 v101, 0x34f2, v93
	v_add_f16_e64 v93, v95, v129
	v_add_f16_e64 v95, v136, v97
	;; [unrolled: 1-line block ×3, first 2 shown]
	s_delay_alu instid0(VALU_DEP_2) | instskip(NEXT) | instid1(VALU_DEP_2)
	v_fma_f16 v95, -0.5, v95, v91
	v_fmac_f16_e64 v91, -0.5, v129
	v_sub_f16_e64 v129, v136, v130
	s_delay_alu instid0(VALU_DEP_3) | instskip(SKIP_1) | instid1(VALU_DEP_3)
	v_fmamk_f16 v102, v99, 0x3b9c, v95
	v_fmac_f16_e32 v95, 0xbb9c, v99
	v_add_f16_e64 v129, v129, v144
	v_fma_f16 v144, 0xbb9c, v139, v91
	v_fmac_f16_e64 v91, 0x3b9c, v139
	v_fmac_f16_e64 v102, 0x38b4, v139
	;; [unrolled: 1-line block ×3, first 2 shown]
	s_delay_alu instid0(VALU_DEP_4) | instskip(NEXT) | instid1(VALU_DEP_4)
	v_fmac_f16_e64 v144, 0x38b4, v99
	v_fmac_f16_e32 v91, 0xb8b4, v99
	v_fmamk_f16 v99, v120, 0xbb9c, v105
	v_fmac_f16_e32 v105, 0x3b9c, v120
	s_delay_alu instid0(VALU_DEP_4) | instskip(NEXT) | instid1(VALU_DEP_4)
	v_fmac_f16_e64 v144, 0x34f2, v129
	v_fmac_f16_e64 v91, 0x34f2, v129
	v_sub_f16_e64 v129, v136, v97
	v_sub_f16_e32 v97, v125, v97
	v_fmac_f16_e32 v99, 0xb8b4, v104
	v_mul_f16_e64 v151, 0xbb9c, v144
	v_mul_f16_e64 v150, 0xbb9c, v91
	v_fma_f16 v146, 0x3b9c, v129, v92
	v_add_f16_e32 v97, v106, v97
	v_fma_f16 v106, 0xbb9c, v149, v134
	v_fmac_f16_e64 v92, 0xbb9c, v129
	v_fmac_f16_e64 v134, 0x3b9c, v149
	;; [unrolled: 1-line block ×3, first 2 shown]
	v_fmac_f16_e32 v102, 0x34f2, v97
	v_fmac_f16_e64 v106, 0xb8b4, v129
	v_fmac_f16_e64 v92, 0x38b4, v149
	v_mul_f16_e32 v91, 0xb4f2, v91
	v_fmac_f16_e64 v134, 0x38b4, v129
	v_mul_f16_e32 v107, 0xb8b4, v102
	v_fmac_f16_e32 v106, 0x34f2, v100
	v_fmac_f16_e32 v92, 0x34f2, v93
	;; [unrolled: 1-line block ×3, first 2 shown]
	v_fmac_f16_e64 v146, 0x34f2, v93
	v_mul_f16_e64 v144, 0x34f2, v144
	v_fmac_f16_e32 v107, 0x3a79, v106
	v_mul_f16_e32 v106, 0x38b4, v106
	v_fmac_f16_e64 v150, 0xb4f2, v92
	v_fmac_f16_e32 v91, 0x3b9c, v92
	v_fmac_f16_e32 v105, 0x38b4, v104
	v_fmac_f16_e64 v134, 0x34f2, v100
	v_fmac_f16_e32 v106, 0x3a79, v102
	v_fmamk_f16 v102, v98, 0x3b9c, v96
	v_fmac_f16_e32 v96, 0xbb9c, v98
	v_mul_f16_e32 v97, 0xba79, v95
	v_fmac_f16_e64 v151, 0x34f2, v146
	v_fmac_f16_e64 v144, 0x3b9c, v146
	v_fmac_f16_e32 v102, 0x38b4, v103
	v_fmac_f16_e32 v96, 0xb8b4, v103
	v_add_f16_e64 v92, v108, v150
	v_add_f16_e32 v93, v101, v91
	v_fmac_f16_e32 v99, 0x34f2, v94
	v_fmac_f16_e32 v102, 0x34f2, v90
	;; [unrolled: 1-line block ×3, first 2 shown]
	v_mul_f16_e32 v90, 0xb8b4, v95
	v_fmac_f16_e32 v105, 0x34f2, v94
	v_fmac_f16_e64 v97, 0x38b4, v134
	v_pack_b32_f16 v93, v92, v93
	v_add_f16_e64 v92, v109, v151
	v_fmac_f16_e64 v90, 0xba79, v134
	v_add_f16_e64 v146, v141, v144
	v_add_f16_e32 v94, v99, v107
	v_add_f16_e32 v95, v102, v106
	v_sub_f16_e32 v98, v99, v107
	v_add_f16_e32 v100, v105, v90
	v_sub_f16_e32 v104, v105, v90
	v_add_f16_e32 v90, v83, v43
	v_sub_f16_e64 v99, v109, v151
	v_sub_f16_e32 v102, v102, v106
	v_sub_f16_e64 v105, v141, v144
	v_add_f16_e32 v106, v96, v97
	v_pack_b32_f16 v92, v92, v146
	v_pack_b32_f16 v95, v94, v95
	v_pk_add_f16 v94, v89, v123
	v_sub_f16_e32 v101, v101, v91
	v_fma_f16 v90, -0.5, v90, v86
	v_sub_f16_e64 v91, v118, v164
	v_sub_f16_e32 v107, v96, v97
	v_pack_b32_f16 v97, v99, v105
	v_pack_b32_f16 v96, v98, v102
	v_pk_add_f16 v99, v89, v123 neg_lo:[0,1] neg_hi:[0,1]
	v_pack_b32_f16 v98, v100, v106
	v_fmamk_f16 v89, v91, 0xbb9c, v90
	v_sub_f16_e32 v105, v88, v83
	v_sub_f16_e32 v106, v45, v43
	ds_store_2addr_b64 v165, v[94:95], v[92:93] offset1:1
	ds_store_2addr_b64 v165, v[98:99], v[96:97] offset0:2 offset1:3
	v_sub_f16_e32 v95, v118, v116
	v_sub_f16_e64 v96, v164, v159
	v_sub_f16_e64 v93, v116, v159
	v_fmac_f16_e32 v90, 0x3b9c, v91
	v_add_f16_e32 v97, v105, v106
	v_sub_f16_e64 v103, v108, v150
	v_add_f16_e32 v95, v95, v96
	v_fmac_f16_e32 v89, 0xb8b4, v93
	v_fmac_f16_e32 v90, 0x38b4, v93
	v_add_f16_e64 v96, v255, v162
	v_add_f16_e64 v102, v116, v159
	v_pack_b32_f16 v101, v103, v101
	v_fmac_f16_e32 v89, 0x34f2, v97
	v_fmac_f16_e32 v90, 0x34f2, v97
	v_fma_f16 v99, -0.5, v96, v219
	v_sub_f16_e32 v97, v85, v46
	v_sub_f16_e64 v96, v112, v255
	v_add_f16_e32 v98, v84, v44
	v_sub_f16_e64 v103, v163, v162
	v_fma_f16 v100, -0.5, v102, v114
	v_fmamk_f16 v105, v97, 0x3b9c, v99
	v_fmac_f16_e32 v99, 0xbb9c, v97
	v_sub_f16_e32 v94, v88, v45
	v_pack_b32_f16 v102, v104, v107
	v_sub_f16_e32 v104, v85, v84
	v_sub_f16_e32 v106, v46, v44
	v_fma_f16 v107, -0.5, v98, v87
	v_sub_f16_e64 v98, v112, v163
	v_add_f16_e32 v103, v96, v103
	v_fmac_f16_e32 v99, 0xb8b4, v127
	v_fmamk_f16 v92, v94, 0x3b9c, v100
	v_sub_f16_e32 v123, v83, v43
	v_fmac_f16_e32 v100, 0xbb9c, v94
	v_add_f16_e32 v104, v104, v106
	v_fmamk_f16 v106, v98, 0xbb9c, v107
	v_fmac_f16_e32 v107, 0x3b9c, v98
	v_sub_f16_e64 v125, v255, v162
	v_fmac_f16_e32 v99, 0x34f2, v103
	v_fmac_f16_e32 v105, 0x38b4, v127
	v_fmac_f16_e32 v92, 0x38b4, v123
	v_fmac_f16_e32 v100, 0xb8b4, v123
	v_fmac_f16_e32 v107, 0x38b4, v125
	v_fmac_f16_e32 v106, 0xb8b4, v125
	v_mul_f16_e32 v96, 0xb8b4, v99
	v_mul_f16_e64 v129, 0xba79, v99
	v_fmac_f16_e32 v105, 0x34f2, v103
	ds_store_b64 v165, v[101:102] offset:32
	v_add_f16_e32 v99, v86, v88
	v_add_f16_e32 v101, v87, v85
	;; [unrolled: 1-line block ×3, first 2 shown]
	v_add_f16_e64 v103, v219, v112
	v_fmac_f16_e32 v92, 0x34f2, v95
	v_fmac_f16_e32 v100, 0x34f2, v95
	;; [unrolled: 1-line block ×4, first 2 shown]
	v_mul_f16_e32 v95, 0xb8b4, v105
	v_add_f16_e32 v104, v99, v83
	v_add_f16_e32 v101, v101, v84
	;; [unrolled: 1-line block ×3, first 2 shown]
	v_add_f16_e64 v103, v103, v255
	v_fmac_f16_e32 v96, 0xba79, v107
	v_fmac_f16_e64 v129, 0x38b4, v107
	v_fmac_f16_e32 v95, 0x3a79, v106
	v_mul_f16_e32 v99, 0x38b4, v106
	v_add_f16_e32 v104, v104, v43
	v_add_f16_e32 v106, v101, v44
	v_add_f16_e64 v107, v102, v159
	v_add_f16_e64 v103, v103, v162
	v_fmac_f16_e32 v99, 0x3a79, v105
	v_add_f16_e32 v101, v104, v45
	v_add_f16_e32 v102, v106, v46
	v_add_f16_e64 v109, v107, v164
	v_add_f16_e64 v120, v103, v163
	v_add_f16_e32 v103, v90, v96
	v_add_f16_e64 v104, v100, v129
	v_sub_f16_e32 v108, v101, v102
	v_sub_f16_e32 v105, v89, v95
	;; [unrolled: 1-line block ×4, first 2 shown]
	s_and_saveexec_b32 s1, vcc_lo
	s_cbranch_execz .LBB0_21
; %bb.20:
	v_sub_f16_e32 v116, v116, v118
	v_add_f16_e64 v118, v118, v164
	v_sub_f16_e64 v130, v159, v164
	v_sub_f16_e32 v84, v84, v85
	v_sub_f16_e32 v44, v44, v46
	;; [unrolled: 1-line block ×3, first 2 shown]
	v_fmac_f16_e32 v114, -0.5, v118
	v_sub_f16_e64 v118, v255, v112
	v_add_f16_e64 v112, v112, v163
	v_add_f16_e32 v44, v84, v44
	v_add_f16_e32 v92, v92, v99
	v_fmamk_f16 v84, v123, 0x3b9c, v114
	v_fmac_f16_e32 v114, 0xbb9c, v123
	v_fmac_f16_e64 v219, -0.5, v112
	v_add_f16_e64 v112, v116, v130
	v_add_f16_e64 v130, v85, v46
	v_sub_f16_e64 v116, v162, v163
	v_fmac_f16_e32 v84, 0xb8b4, v94
	v_fma_f16 v85, 0x3b9c, v127, v219
	v_fmac_f16_e64 v219, 0xbb9c, v127
	v_fmac_f16_e64 v87, -0.5, v130
	v_fmac_f16_e32 v114, 0x38b4, v94
	v_add_f16_e32 v94, v88, v45
	v_add_f16_e32 v46, v118, v116
	v_fmac_f16_e32 v85, 0xb8b4, v97
	v_fmamk_f16 v116, v125, 0xbb9c, v87
	v_fmac_f16_e32 v87, 0x3b9c, v125
	v_fmac_f16_e64 v219, 0x38b4, v97
	v_fmac_f16_e32 v86, -0.5, v94
	v_fmac_f16_e32 v85, 0x34f2, v46
	v_fmac_f16_e32 v116, 0x38b4, v98
	;; [unrolled: 1-line block ×3, first 2 shown]
	v_fmac_f16_e64 v219, 0x34f2, v46
	v_sub_f16_e32 v46, v83, v88
	v_fmamk_f16 v45, v93, 0xbb9c, v86
	v_fmac_f16_e32 v86, 0x3b9c, v93
	v_fmac_f16_e32 v116, 0x34f2, v44
	v_mul_f16_e32 v97, 0xb4f2, v85
	v_fmac_f16_e32 v87, 0x34f2, v44
	v_mul_f16_e64 v44, 0x34f2, v219
	v_add_f16_e32 v43, v46, v43
	v_fmac_f16_e32 v45, 0x38b4, v91
	v_mul_f16_e32 v46, 0xbb9c, v85
	v_fmac_f16_e32 v86, 0xb8b4, v91
	v_mul_f16_e64 v83, 0xbb9c, v219
	v_fmac_f16_e32 v84, 0x34f2, v112
	v_fmac_f16_e32 v114, 0x34f2, v112
	;; [unrolled: 1-line block ×8, first 2 shown]
	v_sub_f16_e32 v87, v84, v97
	v_sub_f16_e32 v85, v114, v44
	;; [unrolled: 1-line block ×5, first 2 shown]
	v_add_f16_e32 v43, v84, v97
	v_add_f16_e32 v84, v114, v44
	;; [unrolled: 1-line block ×4, first 2 shown]
	scratch_load_b32 v86, off, off offset:40 th:TH_LOAD_LU ; 4-byte Folded Reload
	v_add_f16_e32 v93, v109, v120
	v_add_f16_e32 v46, v89, v95
	;; [unrolled: 1-line block ×3, first 2 shown]
	v_sub_f16_e64 v100, v100, v129
	v_pack_b32_f16 v44, v44, v43
	v_pack_b32_f16 v43, v45, v84
	;; [unrolled: 1-line block ×5, first 2 shown]
	v_perm_b32 v83, v106, v105, 0x5040100
	v_perm_b32 v85, v104, v103, 0x5040100
	v_pack_b32_f16 v87, v90, v87
	v_pack_b32_f16 v88, v88, v100
	s_wait_loadcnt 0x0
	v_lshlrev_b32_e32 v89, 2, v86
	v_perm_b32 v86, v107, v108, 0x5040100
	ds_store_2addr_b64 v89, v[45:46], v[43:44] offset1:1
	ds_store_2addr_b64 v89, v[85:86], v[83:84] offset0:2 offset1:3
	ds_store_b64 v89, v[87:88] offset:32
.LBB0_21:
	s_wait_alu 0xfffe
	s_or_b32 exec_lo, exec_lo, s1
	v_add_nc_u32_e32 v43, 0xa00, v110
	global_wb scope:SCOPE_SE
	s_wait_dscnt 0x0
	s_barrier_signal -1
	s_barrier_wait -1
	global_inv scope:SCOPE_SE
	ds_load_2addr_b32 v[85:86], v110 offset1:90
	ds_load_2addr_b32 v[99:100], v43 offset0:110 offset1:200
	v_add_nc_u32_e32 v43, 0x1600, v110
	v_add_nc_u32_e32 v44, 0x200, v110
	;; [unrolled: 1-line block ×5, first 2 shown]
	ds_load_2addr_b32 v[101:102], v43 offset0:92 offset1:182
	ds_load_2addr_b32 v[83:84], v44 offset0:52 offset1:142
	;; [unrolled: 1-line block ×5, first 2 shown]
	v_add_nc_u32_e32 v45, 0x1000, v110
	v_add_nc_u32_e32 v46, 0x1c00, v110
	;; [unrolled: 1-line block ×5, first 2 shown]
	ds_load_2addr_b32 v[93:94], v45 offset0:86 offset1:176
	ds_load_2addr_b32 v[91:92], v46 offset0:68 offset1:158
	;; [unrolled: 1-line block ×5, first 2 shown]
	s_and_saveexec_b32 s1, s0
	s_cbranch_execz .LBB0_23
; %bb.22:
	ds_load_b32 v103, v110 offset:2880
	ds_load_b32 v108, v110 offset:5880
	;; [unrolled: 1-line block ×3, first 2 shown]
	s_wait_dscnt 0x2
	v_lshrrev_b32_e32 v104, 16, v103
	s_wait_dscnt 0x1
	v_lshrrev_b32_e32 v107, 16, v108
	;; [unrolled: 2-line block ×3, first 2 shown]
.LBB0_23:
	s_wait_alu 0xfffe
	s_or_b32 exec_lo, exec_lo, s1
	s_wait_dscnt 0xa
	v_lshrrev_b32_e32 v109, 16, v99
	v_mul_f16_e64 v112, v185, v99
	s_wait_dscnt 0x9
	v_mul_f16_e64 v116, v184, v101
	global_wb scope:SCOPE_SE
	s_wait_dscnt 0x0
	s_barrier_signal -1
	v_mul_f16_e64 v114, v185, v109
	v_fma_f16 v109, v59, v109, -v112
	v_lshrrev_b32_e32 v112, 16, v101
	s_barrier_wait -1
	global_inv scope:SCOPE_SE
	v_fmac_f16_e32 v114, v59, v99
	v_lshrrev_b32_e32 v59, 16, v100
	v_mul_f16_e64 v118, v184, v112
	v_fma_f16 v112, v60, v112, -v116
	v_mul_f16_e64 v99, v183, v100
	v_mul_f16_e64 v116, v182, v102
	s_delay_alu instid0(VALU_DEP_4) | instskip(SKIP_1) | instid1(VALU_DEP_1)
	v_fmac_f16_e32 v118, v60, v101
	v_mul_f16_e64 v60, v183, v59
	v_fmac_f16_e32 v60, v55, v100
	v_lshrrev_b32_e32 v100, 16, v102
	v_fma_f16 v55, v55, v59, -v99
	v_lshrrev_b32_e32 v59, 16, v97
	v_mul_f16_e64 v99, v181, v97
	s_delay_alu instid0(VALU_DEP_4) | instskip(NEXT) | instid1(VALU_DEP_1)
	v_mul_f16_e64 v101, v182, v100
	v_fmac_f16_e32 v101, v56, v102
	v_fma_f16 v56, v56, v100, -v116
	v_mul_f16_e64 v100, v181, v59
	v_fma_f16 v59, v51, v59, -v99
	v_lshrrev_b32_e32 v99, 16, v95
	v_lshrrev_b32_e32 v116, 16, v52
	s_delay_alu instid0(VALU_DEP_4) | instskip(SKIP_2) | instid1(VALU_DEP_4)
	v_fmac_f16_e32 v100, v51, v97
	v_lshrrev_b32_e32 v51, 16, v98
	v_lshrrev_b32_e32 v97, 16, v96
	v_mul_f16_e32 v102, v116, v95
	v_mul_f16_e32 v116, v116, v99
	s_delay_alu instid0(VALU_DEP_2) | instskip(NEXT) | instid1(VALU_DEP_2)
	v_fma_f16 v99, v52, v99, -v102
	v_fmac_f16_e32 v116, v52, v95
	v_mul_f16_e64 v52, v180, v51
	v_lshrrev_b32_e32 v102, 16, v48
	v_mul_f16_e64 v95, v180, v98
	s_delay_alu instid0(VALU_DEP_3) | instskip(NEXT) | instid1(VALU_DEP_3)
	v_fmac_f16_e32 v52, v47, v98
	v_mul_f16_e32 v98, v102, v97
	v_mul_f16_e32 v102, v102, v96
	s_delay_alu instid0(VALU_DEP_4) | instskip(SKIP_1) | instid1(VALU_DEP_4)
	v_fma_f16 v51, v47, v51, -v95
	v_lshrrev_b32_e32 v47, 16, v93
	v_fmac_f16_e32 v98, v48, v96
	v_lshrrev_b32_e32 v96, 16, v63
	v_fma_f16 v95, v48, v97, -v102
	v_lshrrev_b32_e32 v102, 16, v64
	s_delay_alu instid0(VALU_DEP_3) | instskip(SKIP_1) | instid1(VALU_DEP_2)
	v_mul_f16_e32 v48, v96, v93
	v_mul_f16_e32 v96, v96, v47
	v_fma_f16 v97, v63, v47, -v48
	v_lshrrev_b32_e32 v47, 16, v91
	v_mul_f16_e32 v48, v102, v91
	s_delay_alu instid0(VALU_DEP_4) | instskip(SKIP_1) | instid1(VALU_DEP_4)
	v_fmac_f16_e32 v96, v63, v93
	v_lshrrev_b32_e32 v93, 16, v62
	v_mul_f16_e32 v102, v102, v47
	s_delay_alu instid0(VALU_DEP_4) | instskip(SKIP_2) | instid1(VALU_DEP_4)
	v_fma_f16 v120, v64, v47, -v48
	v_lshrrev_b32_e32 v47, 16, v94
	v_lshrrev_b32_e32 v48, 16, v61
	v_fmac_f16_e32 v102, v64, v91
	v_lshrrev_b32_e32 v64, 16, v92
	s_delay_alu instid0(VALU_DEP_3) | instskip(SKIP_1) | instid1(VALU_DEP_3)
	v_mul_f16_e32 v63, v48, v47
	v_mul_f16_e32 v48, v48, v94
	;; [unrolled: 1-line block ×4, first 2 shown]
	s_delay_alu instid0(VALU_DEP_4) | instskip(NEXT) | instid1(VALU_DEP_4)
	v_fmac_f16_e32 v63, v61, v94
	v_fma_f16 v61, v61, v47, -v48
	v_lshrrev_b32_e32 v47, 16, v89
	v_fmac_f16_e32 v91, v62, v92
	v_fma_f16 v62, v62, v64, -v93
	v_lshrrev_b32_e32 v64, 16, v57
	v_lshrrev_b32_e32 v93, 16, v58
	s_delay_alu instid0(VALU_DEP_2) | instskip(SKIP_1) | instid1(VALU_DEP_2)
	v_mul_f16_e32 v48, v64, v89
	v_mul_f16_e32 v64, v64, v47
	v_fma_f16 v92, v57, v47, -v48
	v_lshrrev_b32_e32 v47, 16, v87
	v_mul_f16_e32 v48, v93, v87
	s_delay_alu instid0(VALU_DEP_4) | instskip(SKIP_1) | instid1(VALU_DEP_4)
	v_fmac_f16_e32 v64, v57, v89
	v_lshrrev_b32_e32 v89, 16, v54
	v_mul_f16_e32 v93, v93, v47
	s_delay_alu instid0(VALU_DEP_4) | instskip(SKIP_2) | instid1(VALU_DEP_4)
	v_fma_f16 v94, v58, v47, -v48
	v_lshrrev_b32_e32 v47, 16, v90
	v_lshrrev_b32_e32 v48, 16, v53
	v_fmac_f16_e32 v93, v58, v87
	v_lshrrev_b32_e32 v58, 16, v88
	s_delay_alu instid0(VALU_DEP_3) | instskip(SKIP_1) | instid1(VALU_DEP_3)
	v_mul_f16_e32 v57, v48, v47
	v_mul_f16_e32 v48, v48, v90
	;; [unrolled: 1-line block ×4, first 2 shown]
	s_delay_alu instid0(VALU_DEP_4) | instskip(SKIP_1) | instid1(VALU_DEP_4)
	v_fmac_f16_e32 v57, v53, v90
	v_add_f16_e32 v90, v85, v114
	v_fmac_f16_e32 v87, v54, v88
	v_fma_f16 v88, v53, v47, -v48
	v_lshrrev_b32_e32 v48, 16, v49
	v_fma_f16 v58, v54, v58, -v89
	v_add_f16_e32 v90, v90, v118
	s_delay_alu instid0(VALU_DEP_3) | instskip(SKIP_1) | instid1(VALU_DEP_2)
	v_mul_f16_e32 v47, v48, v107
	v_mul_f16_e32 v48, v48, v108
	v_fmac_f16_e32 v47, v49, v108
	scratch_load_b32 v108, off, off offset:28 th:TH_LOAD_LU ; 4-byte Folded Reload
	v_fma_f16 v53, v49, v107, -v48
	v_lshrrev_b32_e32 v49, 16, v50
	s_delay_alu instid0(VALU_DEP_1) | instskip(SKIP_1) | instid1(VALU_DEP_2)
	v_mul_f16_e32 v48, v49, v106
	v_mul_f16_e32 v49, v49, v105
	v_fmac_f16_e32 v48, v50, v105
	s_delay_alu instid0(VALU_DEP_2) | instskip(SKIP_4) | instid1(VALU_DEP_4)
	v_fma_f16 v54, v50, v106, -v49
	v_lshrrev_b32_e32 v49, 16, v85
	v_add_f16_e32 v50, v109, v112
	v_add_f16_e32 v105, v114, v118
	v_sub_f16_e32 v106, v114, v118
	v_add_f16_e32 v89, v49, v109
	s_delay_alu instid0(VALU_DEP_4) | instskip(SKIP_2) | instid1(VALU_DEP_4)
	v_fmac_f16_e32 v49, -0.5, v50
	v_sub_f16_e32 v50, v109, v112
	v_fma_f16 v85, -0.5, v105, v85
	v_add_f16_e32 v89, v89, v112
	s_delay_alu instid0(VALU_DEP_4) | instskip(SKIP_1) | instid1(VALU_DEP_3)
	v_fmamk_f16 v105, v106, 0x3aee, v49
	v_fmac_f16_e32 v49, 0xbaee, v106
	v_pack_b32_f16 v89, v90, v89
	v_fmamk_f16 v90, v50, 0xbaee, v85
	v_fmac_f16_e32 v85, 0x3aee, v50
	s_delay_alu instid0(VALU_DEP_2) | instskip(SKIP_1) | instid1(VALU_DEP_3)
	v_pack_b32_f16 v90, v90, v105
	v_add_f16_e32 v105, v86, v60
	v_pack_b32_f16 v49, v85, v49
	v_sub_f16_e32 v85, v100, v116
	s_wait_loadcnt 0x0
	ds_store_2addr_b32 v108, v89, v90 offset1:10
	v_add_f16_e32 v89, v60, v101
	v_lshrrev_b32_e32 v90, 16, v86
	v_sub_f16_e32 v60, v60, v101
	ds_store_b32 v108, v49 offset:80
	v_add_f16_e32 v49, v105, v101
	v_fmac_f16_e32 v86, -0.5, v89
	v_sub_f16_e32 v89, v55, v56
	s_delay_alu instid0(VALU_DEP_1) | instskip(SKIP_3) | instid1(VALU_DEP_2)
	v_fmamk_f16 v107, v89, 0xbaee, v86
	v_fmac_f16_e32 v86, 0x3aee, v89
	v_add_f16_e32 v89, v55, v56
	v_add_f16_e32 v55, v90, v55
	v_fmac_f16_e32 v90, -0.5, v89
	s_delay_alu instid0(VALU_DEP_2) | instskip(SKIP_1) | instid1(VALU_DEP_3)
	v_add_f16_e32 v50, v55, v56
	v_add_f16_e32 v56, v83, v100
	v_fmamk_f16 v89, v60, 0x3aee, v90
	v_fmac_f16_e32 v90, 0xbaee, v60
	s_delay_alu instid0(VALU_DEP_4) | instskip(NEXT) | instid1(VALU_DEP_4)
	v_pack_b32_f16 v49, v49, v50
	v_add_f16_e32 v56, v56, v116
	s_delay_alu instid0(VALU_DEP_4) | instskip(NEXT) | instid1(VALU_DEP_4)
	v_pack_b32_f16 v50, v107, v89
	v_pack_b32_f16 v60, v86, v90
	scratch_load_b32 v86, off, off offset:24 th:TH_LOAD_LU ; 4-byte Folded Reload
	s_wait_loadcnt 0x0
	ds_store_b32 v86, v60 offset:80
	scratch_load_b32 v60, off, off offset:32 th:TH_LOAD_LU ; 4-byte Folded Reload
	ds_store_2addr_b32 v86, v49, v50 offset1:10
	v_lshrrev_b32_e32 v49, 16, v83
	v_add_f16_e32 v50, v59, v99
	s_delay_alu instid0(VALU_DEP_2) | instskip(NEXT) | instid1(VALU_DEP_2)
	v_add_f16_e32 v55, v49, v59
	v_fmac_f16_e32 v49, -0.5, v50
	v_sub_f16_e32 v50, v59, v99
	v_add_f16_e32 v59, v100, v116
	s_delay_alu instid0(VALU_DEP_4) | instskip(NEXT) | instid1(VALU_DEP_1)
	v_add_f16_e32 v55, v55, v99
	v_pack_b32_f16 v55, v56, v55
	s_delay_alu instid0(VALU_DEP_3) | instskip(SKIP_2) | instid1(VALU_DEP_3)
	v_fma_f16 v56, -0.5, v59, v83
	v_fmamk_f16 v83, v85, 0x3aee, v49
	v_fmac_f16_e32 v49, 0xbaee, v85
	v_fmamk_f16 v59, v50, 0xbaee, v56
	v_fmac_f16_e32 v56, 0x3aee, v50
	v_add_f16_e32 v50, v52, v98
	s_delay_alu instid0(VALU_DEP_3) | instskip(NEXT) | instid1(VALU_DEP_3)
	v_pack_b32_f16 v59, v59, v83
	v_pack_b32_f16 v49, v56, v49
	v_add_f16_e32 v56, v51, v95
	v_add_f16_e32 v83, v44, v63
	s_wait_loadcnt 0x0
	ds_store_2addr_b32 v60, v55, v59 offset1:10
	v_lshrrev_b32_e32 v55, 16, v84
	v_add_f16_e32 v59, v84, v52
	v_fmac_f16_e32 v84, -0.5, v50
	v_sub_f16_e32 v52, v52, v98
	ds_store_b32 v60, v49 offset:80
	v_add_f16_e32 v50, v55, v51
	v_sub_f16_e32 v51, v51, v95
	v_fmac_f16_e32 v55, -0.5, v56
	v_add_f16_e32 v49, v59, v98
	v_add_f16_e32 v60, v96, v102
	;; [unrolled: 1-line block ×3, first 2 shown]
	scratch_load_b32 v95, off, off offset:20 th:TH_LOAD_LU ; 4-byte Folded Reload
	v_fmamk_f16 v56, v51, 0xbaee, v84
	v_fmamk_f16 v59, v52, 0x3aee, v55
	v_fmac_f16_e32 v84, 0x3aee, v51
	v_fmac_f16_e32 v55, 0xbaee, v52
	v_pack_b32_f16 v49, v49, v50
	v_fma_f16 v52, -0.5, v60, v43
	v_pack_b32_f16 v50, v56, v59
	v_lshrrev_b32_e32 v56, 16, v43
	v_pack_b32_f16 v55, v84, v55
	v_sub_f16_e32 v51, v97, v120
	v_add_f16_e32 v43, v43, v96
	v_lshrrev_b32_e32 v60, 16, v44
	s_delay_alu instid0(VALU_DEP_3) | instskip(NEXT) | instid1(VALU_DEP_3)
	v_fmamk_f16 v59, v51, 0xbaee, v52
	v_add_f16_e32 v43, v43, v102
	v_fmac_f16_e32 v52, 0x3aee, v51
	v_add_f16_e32 v51, v63, v91
	s_delay_alu instid0(VALU_DEP_1) | instskip(SKIP_1) | instid1(VALU_DEP_1)
	v_fmac_f16_e32 v44, -0.5, v51
	v_sub_f16_e32 v51, v61, v62
	v_fmamk_f16 v86, v51, 0xbaee, v44
	v_fmac_f16_e32 v44, 0x3aee, v51
	v_sub_f16_e32 v51, v64, v93
	s_wait_loadcnt 0x0
	ds_store_b32 v95, v55 offset:80
	scratch_load_b32 v55, off, off offset:16 th:TH_LOAD_LU ; 4-byte Folded Reload
	ds_store_2addr_b32 v95, v49, v50 offset1:10
	v_add_f16_e32 v49, v97, v120
	v_add_f16_e32 v50, v56, v97
	s_delay_alu instid0(VALU_DEP_2) | instskip(SKIP_1) | instid1(VALU_DEP_3)
	v_fmac_f16_e32 v56, -0.5, v49
	v_sub_f16_e32 v49, v96, v102
	v_add_f16_e32 v84, v50, v120
	v_add_f16_e32 v50, v61, v62
	s_delay_alu instid0(VALU_DEP_3) | instskip(SKIP_1) | instid1(VALU_DEP_4)
	v_fmamk_f16 v85, v49, 0x3aee, v56
	v_fmac_f16_e32 v56, 0xbaee, v49
	v_pack_b32_f16 v43, v43, v84
	v_add_f16_e32 v49, v60, v61
	v_fmac_f16_e32 v60, -0.5, v50
	v_pack_b32_f16 v59, v59, v85
	v_pack_b32_f16 v56, v52, v56
	v_sub_f16_e32 v61, v63, v91
	v_add_f16_e32 v50, v64, v93
	v_add_f16_e32 v63, v83, v91
	;; [unrolled: 1-line block ×3, first 2 shown]
	v_sub_f16_e32 v49, v92, v94
	v_fmamk_f16 v89, v61, 0x3aee, v60
	v_fmac_f16_e32 v60, 0xbaee, v61
	v_fma_f16 v83, -0.5, v50, v45
	v_lshrrev_b32_e32 v61, 16, v45
	v_add_f16_e32 v50, v92, v94
	v_add_f16_e32 v45, v45, v64
	v_pack_b32_f16 v62, v63, v62
	v_fmamk_f16 v90, v49, 0xbaee, v83
	v_fmac_f16_e32 v83, 0x3aee, v49
	v_add_f16_e32 v49, v61, v92
	v_fmac_f16_e32 v61, -0.5, v50
	v_add_f16_e32 v45, v45, v93
	v_pack_b32_f16 v63, v86, v89
	v_add_f16_e32 v50, v57, v87
	v_add_f16_e32 v64, v49, v94
	v_fmamk_f16 v92, v51, 0x3aee, v61
	v_fmac_f16_e32 v61, 0xbaee, v51
	v_lshrrev_b32_e32 v91, 16, v46
	v_add_f16_e32 v49, v46, v57
	v_fmac_f16_e32 v46, -0.5, v50
	v_add_f16_e32 v50, v88, v58
	v_sub_f16_e32 v57, v57, v87
	v_add_f16_e32 v51, v91, v88
	v_sub_f16_e32 v88, v88, v58
	v_add_f16_e32 v93, v49, v87
	v_fmac_f16_e32 v91, -0.5, v50
	v_add_f16_e32 v50, v47, v48
	v_add_f16_e32 v58, v51, v58
	;; [unrolled: 1-line block ×3, first 2 shown]
	v_fmamk_f16 v87, v88, 0xbaee, v46
	v_fmac_f16_e32 v46, 0x3aee, v88
	v_fma_f16 v49, -0.5, v50, v103
	v_sub_f16_e32 v88, v53, v54
	v_fmamk_f16 v94, v57, 0x3aee, v91
	v_fmac_f16_e32 v91, 0xbaee, v57
	v_fma_f16 v51, -0.5, v51, v104
	v_sub_f16_e32 v57, v47, v48
	v_fmamk_f16 v50, v88, 0xbaee, v49
	v_fmac_f16_e32 v49, 0x3aee, v88
	v_pack_b32_f16 v46, v46, v91
	s_wait_loadcnt 0x0
	ds_store_2addr_b32 v55, v43, v59 offset1:10
	ds_store_b32 v55, v56 offset:80
	scratch_load_b32 v59, off, off offset:12 th:TH_LOAD_LU ; 4-byte Folded Reload
	v_pack_b32_f16 v43, v44, v60
	v_pack_b32_f16 v44, v45, v64
	;; [unrolled: 1-line block ×4, first 2 shown]
	v_fmamk_f16 v52, v57, 0x3aee, v51
	v_fmac_f16_e32 v51, 0xbaee, v57
	v_pack_b32_f16 v56, v93, v58
	v_pack_b32_f16 v57, v87, v94
	s_wait_loadcnt 0x0
	ds_store_b32 v59, v43 offset:80
	scratch_load_b32 v43, off, off offset:8 th:TH_LOAD_LU ; 4-byte Folded Reload
	ds_store_2addr_b32 v59, v62, v63 offset1:10
	s_wait_loadcnt 0x0
	ds_store_2addr_b32 v43, v44, v45 offset1:10
	ds_store_b32 v43, v55 offset:80
	scratch_load_b32 v43, off, off offset:4 th:TH_LOAD_LU ; 4-byte Folded Reload
	s_wait_loadcnt 0x0
	ds_store_2addr_b32 v43, v56, v57 offset1:10
	ds_store_b32 v43, v46 offset:80
	s_and_saveexec_b32 s1, s0
	s_cbranch_execz .LBB0_25
; %bb.24:
	scratch_load_b32 v45, off, off th:TH_LOAD_LU ; 4-byte Folded Reload
	v_add_f16_e32 v43, v104, v53
	v_add_f16_e32 v44, v103, v47
	v_perm_b32 v46, v52, v50, 0x5040100
	s_delay_alu instid0(VALU_DEP_3) | instskip(NEXT) | instid1(VALU_DEP_3)
	v_add_f16_e32 v43, v43, v54
	v_add_f16_e32 v44, v44, v48
	s_delay_alu instid0(VALU_DEP_1) | instskip(SKIP_3) | instid1(VALU_DEP_1)
	v_pack_b32_f16 v43, v44, v43
	v_perm_b32 v44, v51, v49, 0x5040100
	s_wait_loadcnt 0x0
	v_and_b32_e32 v45, 0xffff, v45
	v_lshlrev_b32_e32 v45, 2, v45
	ds_store_2addr_b32 v45, v43, v46 offset1:10
	ds_store_b32 v45, v44 offset:80
.LBB0_25:
	s_wait_alu 0xfffe
	s_or_b32 exec_lo, exec_lo, s1
	v_add_nc_u32_e32 v53, 0x400, v110
	v_add_nc_u32_e32 v54, 0xc00, v110
	;; [unrolled: 1-line block ×4, first 2 shown]
	global_wb scope:SCOPE_SE
	s_wait_dscnt 0x0
	s_barrier_signal -1
	s_barrier_wait -1
	global_inv scope:SCOPE_SE
	ds_load_2addr_b32 v[45:46], v110 offset1:90
	ds_load_2addr_b32 v[43:44], v53 offset0:104 offset1:194
	ds_load_2addr_b32 v[86:87], v54 offset0:132 offset1:222
	;; [unrolled: 1-line block ×3, first 2 shown]
	v_add_nc_u32_e32 v55, 0x1c00, v110
	ds_load_2addr_b32 v[92:93], v56 offset0:28 offset1:118
	v_add_nc_u32_e32 v57, 0x1400, v110
	v_add_nc_u32_e32 v59, 0x1000, v110
	;; [unrolled: 1-line block ×3, first 2 shown]
	ds_load_2addr_b32 v[90:91], v55 offset0:8 offset1:98
	v_add_nc_u32_e32 v60, 0x1e00, v110
	ds_load_2addr_b32 v[94:95], v57 offset0:160 offset1:250
	v_add_nc_u32_e32 v61, 0xa00, v110
	v_add_nc_u32_e32 v62, 0x1800, v110
	ds_load_2addr_b32 v[96:97], v59 offset0:56 offset1:146
	ds_load_2addr_b32 v[47:48], v58 offset0:52 offset1:142
	;; [unrolled: 1-line block ×5, first 2 shown]
	ds_load_b32 v108, v110 offset:8640
	global_wb scope:SCOPE_SE
	s_wait_dscnt 0x0
	s_barrier_signal -1
	s_barrier_wait -1
	v_lshrrev_b32_e32 v104, 16, v44
	v_lshrrev_b32_e32 v105, 16, v86
	;; [unrolled: 1-line block ×3, first 2 shown]
	v_mul_f16_e64 v149, v195, v86
	v_lshrrev_b32_e32 v109, 16, v92
	v_mul_f16_e64 v134, v198, v104
	v_mul_f16_e64 v146, v195, v105
	v_lshrrev_b32_e32 v112, 16, v87
	v_lshrrev_b32_e32 v107, 16, v90
	v_mul_f16_e64 v150, v197, v106
	v_fmac_f16_e64 v134, v4, v44
	v_mul_f16_e64 v44, v198, v44
	v_mul_f16_e64 v151, v197, v89
	v_fmac_f16_e64 v146, v5, v86
	v_fma_f16 v86, v5, v105, -v149
	v_mul_f16_e64 v105, v196, v109
	v_mul_f16_e64 v5, v196, v92
	v_lshrrev_b32_e32 v114, 16, v94
	v_lshrrev_b32_e32 v116, 16, v91
	;; [unrolled: 1-line block ×3, first 2 shown]
	v_fma_f16 v44, v4, v104, -v44
	v_fmac_f16_e64 v150, v6, v89
	v_fma_f16 v89, v6, v106, -v151
	v_mul_f16_e64 v104, v194, v107
	v_mul_f16_e64 v4, v194, v90
	;; [unrolled: 1-line block ×3, first 2 shown]
	v_fmac_f16_e32 v105, v0, v92
	v_fma_f16 v92, v0, v109, -v5
	v_mul_f16_e64 v0, v192, v87
	v_lshrrev_b32_e32 v120, 16, v96
	v_lshrrev_b32_e32 v123, 16, v95
	;; [unrolled: 1-line block ×3, first 2 shown]
	v_fmac_f16_e32 v104, v7, v90
	v_fma_f16 v90, v7, v107, -v4
	v_fmac_f16_e32 v106, v1, v87
	v_mul_f16_e64 v87, v193, v114
	v_mul_f16_e64 v4, v193, v94
	;; [unrolled: 1-line block ×4, first 2 shown]
	v_fma_f16 v109, v1, v112, -v0
	v_mul_f16_e64 v112, v200, v118
	v_mul_f16_e64 v0, v200, v93
	v_lshrrev_b32_e32 v127, 16, v100
	v_lshrrev_b32_e32 v129, 16, v97
	v_fmac_f16_e32 v87, v2, v94
	v_fma_f16 v94, v2, v114, -v4
	v_fmac_f16_e32 v107, v3, v91
	v_fma_f16 v91, v3, v116, -v5
	v_mul_f16_e64 v114, v202, v120
	v_mul_f16_e64 v1, v202, v96
	;; [unrolled: 1-line block ×3, first 2 shown]
	v_fmac_f16_e32 v112, v16, v93
	v_fma_f16 v16, v16, v118, -v0
	v_mul_f16_e64 v0, v199, v95
	v_mul_f16_e64 v93, v201, v125
	v_lshrrev_b32_e32 v130, 16, v102
	v_lshrrev_b32_e32 v133, 16, v99
	v_fmac_f16_e32 v114, v17, v96
	v_fma_f16 v17, v17, v120, -v1
	v_fmac_f16_e32 v116, v18, v95
	v_mul_f16_e64 v1, v201, v98
	v_mul_f16_e64 v95, v206, v127
	v_fma_f16 v18, v18, v123, -v0
	v_fmac_f16_e32 v93, v19, v98
	v_mul_f16_e64 v98, v204, v129
	v_mul_f16_e64 v0, v204, v97
	v_lshrrev_b32_e32 v136, 16, v101
	v_lshrrev_b32_e32 v139, 16, v88
	;; [unrolled: 1-line block ×3, first 2 shown]
	v_mul_f16_e64 v2, v206, v100
	v_fma_f16 v19, v19, v125, -v1
	v_fmac_f16_e32 v95, v12, v100
	v_mul_f16_e64 v100, v205, v130
	v_mul_f16_e64 v1, v205, v102
	v_mul_f16_e64 v118, v203, v133
	v_fmac_f16_e32 v98, v13, v97
	v_fma_f16 v13, v13, v129, -v0
	v_mul_f16_e64 v0, v203, v99
	v_add_f16_e64 v5, v45, v134
	v_lshrrev_b32_e32 v144, 16, v108
	v_fma_f16 v96, v12, v127, -v2
	v_fmac_f16_e32 v100, v14, v102
	v_fma_f16 v14, v14, v130, -v1
	v_fmac_f16_e32 v118, v15, v99
	v_mul_f16_e64 v6, v209, v136
	v_mul_f16_e64 v1, v209, v101
	;; [unrolled: 1-line block ×4, first 2 shown]
	v_fma_f16 v15, v15, v133, -v0
	v_add_f16_e64 v0, v146, v150
	v_mul_f16_e64 v12, v208, v141
	v_mul_f16_e64 v3, v208, v103
	v_add_f16_e64 v5, v5, v146
	v_lshrrev_b32_e32 v85, 16, v45
	v_fmac_f16_e32 v6, v8, v101
	v_fma_f16 v1, v8, v136, -v1
	v_fmac_f16_e32 v4, v9, v88
	v_fma_f16 v2, v9, v139, -v2
	v_mul_f16_e64 v88, v207, v144
	v_fma_f16 v0, -0.5, v0, v45
	v_sub_f16_e32 v97, v44, v90
	v_fmac_f16_e32 v12, v10, v103
	v_fma_f16 v7, v10, v141, -v3
	v_sub_f16_e64 v8, v134, v146
	v_sub_f16_e64 v9, v104, v150
	v_add_f16_e64 v10, v134, v104
	v_mul_f16_e64 v101, v207, v108
	v_add_f16_e64 v102, v5, v150
	v_fmac_f16_e32 v88, v11, v108
	v_fmamk_f16 v3, v97, 0xbb9c, v0
	v_sub_f16_e32 v99, v86, v89
	v_add_f16_e32 v103, v8, v9
	v_fma_f16 v5, -0.5, v10, v45
	v_fma_f16 v10, v11, v144, -v101
	v_add_f16_e32 v8, v102, v104
	v_fmac_f16_e32 v0, 0x3b9c, v97
	v_sub_f16_e64 v11, v146, v134
	v_sub_f16_e64 v45, v150, v104
	v_add_f16_e32 v101, v85, v44
	v_add_f16_e32 v102, v86, v89
	v_fmac_f16_e32 v3, 0xb8b4, v99
	v_fmamk_f16 v9, v99, 0x3b9c, v5
	v_fmac_f16_e32 v0, 0x38b4, v99
	v_add_f16_e32 v11, v11, v45
	v_fmac_f16_e32 v5, 0xbb9c, v99
	v_add_f16_e32 v45, v101, v86
	v_fma_f16 v99, -0.5, v102, v85
	v_sub_f16_e64 v101, v134, v104
	v_fmac_f16_e32 v3, 0x34f2, v103
	v_fmac_f16_e32 v9, 0xb8b4, v97
	;; [unrolled: 1-line block ×4, first 2 shown]
	v_add_f16_e32 v45, v45, v89
	v_fmamk_f16 v97, v101, 0x3b9c, v99
	v_add_f16_e32 v102, v44, v90
	v_sub_f16_e64 v103, v146, v150
	v_sub_f16_e32 v104, v44, v86
	v_sub_f16_e32 v108, v90, v89
	v_fmac_f16_e32 v99, 0xbb9c, v101
	v_sub_f16_e32 v44, v86, v44
	v_sub_f16_e32 v86, v89, v90
	v_fmac_f16_e32 v9, 0x34f2, v11
	v_fmac_f16_e32 v5, 0x34f2, v11
	v_fmac_f16_e32 v85, -0.5, v102
	v_add_f16_e32 v11, v45, v90
	v_fmac_f16_e32 v97, 0x38b4, v103
	v_add_f16_e32 v45, v104, v108
	v_add_f16_e32 v89, v106, v87
	v_fmac_f16_e32 v99, 0xb8b4, v103
	v_add_f16_e32 v44, v44, v86
	v_add_f16_e32 v86, v46, v105
	v_lshrrev_b32_e32 v83, 16, v46
	v_fmamk_f16 v102, v103, 0xbb9c, v85
	v_fmac_f16_e32 v97, 0x34f2, v45
	v_fma_f16 v89, -0.5, v89, v46
	v_sub_f16_e32 v90, v92, v91
	v_fmac_f16_e32 v99, 0x34f2, v45
	v_fmac_f16_e32 v85, 0x3b9c, v103
	v_add_f16_e32 v45, v86, v106
	v_add_f16_e32 v120, v105, v107
	v_fmac_f16_e32 v102, 0x38b4, v101
	v_fmamk_f16 v103, v90, 0xbb9c, v89
	v_sub_f16_e32 v86, v109, v94
	v_sub_f16_e32 v104, v105, v106
	;; [unrolled: 1-line block ×3, first 2 shown]
	v_fmac_f16_e32 v85, 0xb8b4, v101
	v_add_f16_e32 v45, v45, v87
	v_fmac_f16_e32 v46, -0.5, v120
	v_fmac_f16_e32 v89, 0x3b9c, v90
	v_add_f16_e32 v120, v83, v92
	v_fmac_f16_e32 v102, 0x34f2, v44
	v_fmac_f16_e32 v103, 0xb8b4, v86
	v_add_f16_e32 v101, v104, v108
	v_fmac_f16_e32 v85, 0x34f2, v44
	v_add_f16_e32 v44, v45, v107
	v_fmamk_f16 v45, v86, 0x3b9c, v46
	v_sub_f16_e32 v104, v106, v105
	v_sub_f16_e32 v108, v87, v107
	v_fmac_f16_e32 v89, 0x38b4, v86
	v_add_f16_e32 v123, v109, v94
	v_fmac_f16_e32 v46, 0xbb9c, v86
	v_add_f16_e32 v86, v120, v109
	;; [unrolled: 2-line block ×3, first 2 shown]
	v_fma_f16 v108, -0.5, v123, v83
	v_sub_f16_e32 v105, v105, v107
	v_fmac_f16_e32 v89, 0x34f2, v101
	v_add_f16_e32 v86, v86, v94
	v_add_f16_e32 v101, v92, v91
	v_fmac_f16_e32 v45, 0xb8b4, v90
	v_fmac_f16_e32 v46, 0x38b4, v90
	v_fmamk_f16 v90, v105, 0x3b9c, v108
	v_sub_f16_e32 v87, v106, v87
	v_sub_f16_e32 v106, v92, v109
	;; [unrolled: 1-line block ×3, first 2 shown]
	v_fmac_f16_e32 v83, -0.5, v101
	v_add_f16_e32 v101, v86, v91
	v_fmac_f16_e32 v108, 0xbb9c, v105
	v_sub_f16_e32 v92, v109, v92
	v_sub_f16_e32 v91, v94, v91
	v_fmac_f16_e32 v90, 0x38b4, v87
	v_add_f16_e32 v86, v106, v107
	v_fmac_f16_e32 v108, 0xb8b4, v87
	v_fmac_f16_e32 v45, 0x34f2, v104
	v_add_f16_e32 v91, v92, v91
	v_add_f16_e32 v92, v47, v112
	v_fmac_f16_e32 v46, 0x34f2, v104
	v_fmamk_f16 v104, v87, 0xbb9c, v83
	v_fmac_f16_e32 v90, 0x34f2, v86
	v_add_f16_e32 v94, v114, v116
	v_fmac_f16_e32 v108, 0x34f2, v86
	v_fmac_f16_e32 v83, 0x3b9c, v87
	v_add_f16_e32 v86, v92, v114
	v_sub_f16_e32 v107, v112, v114
	v_sub_f16_e32 v109, v93, v116
	v_add_f16_e32 v120, v112, v93
	v_lshrrev_b32_e32 v84, 16, v47
	v_fmac_f16_e32 v104, 0x38b4, v105
	v_fma_f16 v94, -0.5, v94, v47
	v_sub_f16_e32 v106, v16, v19
	v_sub_f16_e32 v92, v17, v18
	v_fmac_f16_e32 v83, 0xb8b4, v105
	v_add_f16_e32 v86, v86, v116
	v_add_f16_e32 v105, v107, v109
	v_fma_f16 v107, -0.5, v120, v47
	v_fmac_f16_e32 v104, 0x34f2, v91
	v_fmamk_f16 v87, v106, 0xbb9c, v94
	v_fmac_f16_e32 v83, 0x34f2, v91
	v_add_f16_e32 v91, v86, v93
	v_fmac_f16_e32 v94, 0x3b9c, v106
	v_fmamk_f16 v109, v92, 0x3b9c, v107
	v_sub_f16_e32 v47, v114, v112
	v_sub_f16_e32 v86, v116, v93
	v_add_f16_e32 v120, v84, v16
	v_add_f16_e32 v123, v17, v18
	v_fmac_f16_e32 v107, 0xbb9c, v92
	v_fmac_f16_e32 v87, 0xb8b4, v92
	;; [unrolled: 1-line block ×4, first 2 shown]
	v_add_f16_e32 v47, v47, v86
	v_add_f16_e32 v86, v120, v17
	v_fma_f16 v92, -0.5, v123, v84
	v_sub_f16_e32 v93, v112, v93
	v_fmac_f16_e32 v107, 0x38b4, v106
	v_add_f16_e32 v106, v16, v19
	v_sub_f16_e32 v112, v114, v116
	v_sub_f16_e32 v114, v16, v17
	;; [unrolled: 1-line block ×4, first 2 shown]
	v_fmac_f16_e32 v87, 0x34f2, v105
	v_fmac_f16_e32 v94, 0x34f2, v105
	v_add_f16_e32 v86, v86, v18
	v_fmamk_f16 v105, v93, 0x3b9c, v92
	v_sub_f16_e32 v116, v19, v18
	v_fmac_f16_e32 v84, -0.5, v106
	v_fmac_f16_e32 v92, 0xbb9c, v93
	v_add_f16_e32 v18, v98, v100
	v_add_f16_e32 v16, v16, v17
	;; [unrolled: 1-line block ×3, first 2 shown]
	v_lshrrev_b32_e32 v64, 16, v48
	v_fmac_f16_e32 v109, 0x34f2, v47
	v_fmac_f16_e32 v107, 0x34f2, v47
	v_add_f16_e32 v106, v86, v19
	v_fmac_f16_e32 v105, 0x38b4, v112
	v_add_f16_e32 v47, v114, v116
	v_fmamk_f16 v114, v112, 0xbb9c, v84
	v_fmac_f16_e32 v92, 0xb8b4, v112
	v_fma_f16 v18, -0.5, v18, v48
	v_sub_f16_e32 v19, v96, v15
	v_fmac_f16_e32 v84, 0x3b9c, v112
	v_add_f16_e32 v17, v17, v98
	v_add_f16_e32 v120, v95, v118
	v_fmac_f16_e32 v105, 0x34f2, v47
	v_fmac_f16_e32 v114, 0x38b4, v93
	v_fmac_f16_e32 v92, 0x34f2, v47
	v_fmamk_f16 v112, v19, 0xbb9c, v18
	v_sub_f16_e32 v47, v13, v14
	v_sub_f16_e32 v86, v95, v98
	;; [unrolled: 1-line block ×3, first 2 shown]
	v_fmac_f16_e32 v84, 0xb8b4, v93
	v_add_f16_e32 v17, v17, v100
	v_fmac_f16_e32 v48, -0.5, v120
	v_fmac_f16_e32 v18, 0x3b9c, v19
	v_add_f16_e32 v120, v64, v96
	v_fmac_f16_e32 v114, 0x34f2, v16
	v_fmac_f16_e32 v112, 0xb8b4, v47
	v_add_f16_e32 v86, v86, v116
	v_fmac_f16_e32 v84, 0x34f2, v16
	v_add_f16_e32 v16, v17, v118
	v_fmamk_f16 v17, v47, 0x3b9c, v48
	v_sub_f16_e32 v93, v98, v95
	v_sub_f16_e32 v116, v100, v118
	v_fmac_f16_e32 v18, 0x38b4, v47
	v_add_f16_e32 v123, v13, v14
	v_fmac_f16_e32 v48, 0xbb9c, v47
	v_add_f16_e32 v47, v120, v13
	;; [unrolled: 2-line block ×3, first 2 shown]
	v_fma_f16 v116, -0.5, v123, v64
	v_sub_f16_e32 v95, v95, v118
	v_fmac_f16_e32 v48, 0x38b4, v19
	v_add_f16_e32 v19, v47, v14
	v_add_f16_e32 v47, v96, v15
	v_fmac_f16_e32 v112, 0x34f2, v86
	v_fmac_f16_e32 v18, 0x34f2, v86
	v_fmamk_f16 v118, v95, 0x3b9c, v116
	v_sub_f16_e32 v86, v98, v100
	v_sub_f16_e32 v98, v96, v13
	;; [unrolled: 1-line block ×3, first 2 shown]
	v_fmac_f16_e32 v64, -0.5, v47
	v_add_f16_e32 v19, v19, v15
	v_fmac_f16_e32 v116, 0xbb9c, v95
	v_sub_f16_e32 v13, v13, v96
	v_sub_f16_e32 v14, v14, v15
	v_add_f16_e32 v15, v4, v12
	v_fmac_f16_e32 v17, 0x34f2, v93
	v_fmac_f16_e32 v48, 0x34f2, v93
	;; [unrolled: 1-line block ×3, first 2 shown]
	v_add_f16_e32 v93, v98, v100
	v_fmamk_f16 v98, v86, 0xbb9c, v64
	v_fmac_f16_e32 v116, 0xb8b4, v86
	v_add_f16_e32 v13, v13, v14
	v_fmac_f16_e32 v64, 0x3b9c, v86
	v_add_f16_e32 v14, v43, v6
	v_fma_f16 v47, -0.5, v15, v43
	v_sub_f16_e32 v15, v1, v10
	v_fmac_f16_e32 v118, 0x34f2, v93
	v_fmac_f16_e32 v98, 0x38b4, v95
	;; [unrolled: 1-line block ×4, first 2 shown]
	v_add_f16_e32 v14, v14, v4
	v_fmamk_f16 v93, v15, 0xbb9c, v47
	v_sub_f16_e32 v86, v2, v7
	v_sub_f16_e32 v95, v6, v4
	v_sub_f16_e32 v96, v88, v12
	v_fmac_f16_e32 v47, 0x3b9c, v15
	v_add_f16_e32 v100, v6, v88
	v_lshrrev_b32_e32 v63, 16, v43
	v_add_f16_e32 v14, v14, v12
	v_fmac_f16_e32 v93, 0xb8b4, v86
	v_add_f16_e32 v95, v95, v96
	v_fmac_f16_e32 v47, 0x38b4, v86
	v_fmac_f16_e32 v43, -0.5, v100
	v_sub_f16_e32 v96, v4, v6
	v_sub_f16_e32 v100, v12, v88
	v_fmac_f16_e32 v98, 0x34f2, v13
	v_fmac_f16_e32 v64, 0x34f2, v13
	v_add_f16_e32 v13, v14, v88
	v_fmac_f16_e32 v93, 0x34f2, v95
	v_fmac_f16_e32 v47, 0x34f2, v95
	v_fmamk_f16 v14, v86, 0x3b9c, v43
	v_add_f16_e32 v95, v2, v7
	v_fmac_f16_e32 v43, 0xbb9c, v86
	v_add_f16_e32 v120, v63, v1
	v_sub_f16_e32 v6, v6, v88
	v_add_f16_e32 v88, v96, v100
	v_add_f16_e32 v96, v1, v10
	v_fma_f16 v86, -0.5, v95, v63
	v_fmac_f16_e32 v14, 0xb8b4, v15
	v_fmac_f16_e32 v43, 0x38b4, v15
	v_add_f16_e32 v15, v120, v2
	v_sub_f16_e32 v4, v4, v12
	v_fmac_f16_e32 v63, -0.5, v96
	v_fmamk_f16 v95, v6, 0x3b9c, v86
	v_fmac_f16_e32 v14, 0x34f2, v88
	v_add_f16_e32 v12, v15, v7
	v_sub_f16_e32 v15, v1, v2
	v_fmamk_f16 v96, v4, 0xbb9c, v63
	v_sub_f16_e32 v1, v2, v1
	v_sub_f16_e32 v2, v7, v10
	v_fmac_f16_e32 v63, 0x3b9c, v4
	v_fmac_f16_e32 v43, 0x34f2, v88
	v_sub_f16_e32 v88, v10, v7
	v_fmac_f16_e32 v86, 0xbb9c, v6
	v_fmac_f16_e32 v96, 0x38b4, v6
	v_add_f16_e32 v1, v1, v2
	v_fmac_f16_e32 v63, 0xb8b4, v6
	v_fmac_f16_e32 v95, 0x38b4, v4
	v_add_f16_e32 v7, v15, v88
	v_fmac_f16_e32 v86, 0xb8b4, v4
	v_fmac_f16_e32 v96, 0x34f2, v1
	;; [unrolled: 1-line block ×3, first 2 shown]
	v_pack_b32_f16 v1, v8, v11
	v_pack_b32_f16 v3, v3, v97
	;; [unrolled: 1-line block ×5, first 2 shown]
	v_fmac_f16_e32 v95, 0x34f2, v7
	v_fmac_f16_e32 v86, 0x34f2, v7
	v_pack_b32_f16 v6, v44, v101
	v_pack_b32_f16 v7, v103, v90
	;; [unrolled: 1-line block ×4, first 2 shown]
	global_inv scope:SCOPE_SE
	ds_store_2addr_b32 v166, v1, v3 offset1:30
	ds_store_2addr_b32 v166, v4, v5 offset0:60 offset1:90
	ds_store_b32 v166, v0 offset:480
	ds_store_2addr_b32 v186, v6, v7 offset1:30
	ds_store_2addr_b32 v186, v8, v9 offset0:60 offset1:90
	v_pack_b32_f16 v0, v89, v108
	v_pack_b32_f16 v1, v91, v106
	;; [unrolled: 1-line block ×3, first 2 shown]
	v_add_f16_e32 v2, v12, v10
	v_pack_b32_f16 v4, v109, v114
	v_pack_b32_f16 v5, v107, v84
	;; [unrolled: 1-line block ×5, first 2 shown]
	ds_store_b32 v186, v0 offset:480
	ds_store_2addr_b32 v187, v1, v3 offset1:30
	ds_store_2addr_b32 v187, v4, v5 offset0:60 offset1:90
	ds_store_b32 v187, v6 offset:480
	ds_store_2addr_b32 v188, v7, v8 offset1:30
	v_pack_b32_f16 v0, v17, v98
	v_pack_b32_f16 v1, v48, v64
	;; [unrolled: 1-line block ×8, first 2 shown]
	ds_store_2addr_b32 v188, v0, v1 offset0:60 offset1:90
	ds_store_b32 v188, v3 offset:480
	ds_store_2addr_b32 v189, v2, v4 offset1:30
	ds_store_2addr_b32 v189, v5, v6 offset0:60 offset1:90
	ds_store_b32 v189, v7 offset:480
	v_add_nc_u32_e32 v0, 0x1600, v110
	global_wb scope:SCOPE_SE
	s_wait_dscnt 0x0
	s_barrier_signal -1
	s_barrier_wait -1
	global_inv scope:SCOPE_SE
	ds_load_2addr_b32 v[6:7], v110 offset1:90
	ds_load_2addr_b32 v[45:46], v61 offset0:110 offset1:200
	ds_load_2addr_b32 v[43:44], v0 offset0:92 offset1:182
	;; [unrolled: 1-line block ×11, first 2 shown]
	s_and_saveexec_b32 s1, s0
	s_cbranch_execz .LBB0_27
; %bb.26:
	ds_load_b32 v47, v110 offset:2880
	ds_load_b32 v50, v110 offset:5880
	;; [unrolled: 1-line block ×3, first 2 shown]
	s_wait_dscnt 0x2
	v_lshrrev_b32_e32 v86, 16, v47
	s_wait_dscnt 0x1
	v_lshrrev_b32_e32 v52, 16, v50
	;; [unrolled: 2-line block ×3, first 2 shown]
.LBB0_27:
	s_wait_alu 0xfffe
	s_or_b32 exec_lo, exec_lo, s1
	s_wait_dscnt 0xa
	v_lshrrev_b32_e32 v53, 16, v45
	s_wait_dscnt 0x9
	v_lshrrev_b32_e32 v54, 16, v43
	v_lshrrev_b32_e32 v56, 16, v46
	;; [unrolled: 1-line block ×3, first 2 shown]
	v_mul_f16_e64 v95, v212, v45
	v_mul_f16_e64 v93, v212, v53
	v_mul_f16_e64 v97, v211, v54
	s_wait_dscnt 0x7
	v_lshrrev_b32_e32 v59, 16, v18
	s_wait_dscnt 0x6
	v_lshrrev_b32_e32 v60, 16, v16
	v_fma_f16 v53, v79, v53, -v95
	v_fmac_f16_e32 v93, v79, v45
	v_mul_f16_e64 v45, v211, v43
	v_mul_f16_e64 v79, v217, v56
	v_fmac_f16_e32 v97, v80, v43
	v_mul_f16_e64 v43, v217, v46
	v_lshrrev_b32_e32 v62, 16, v19
	v_fma_f16 v45, v80, v54, -v45
	v_mul_f16_e64 v54, v215, v57
	v_fmac_f16_e32 v79, v81, v46
	v_mul_f16_e64 v46, v215, v44
	v_fma_f16 v43, v81, v56, -v43
	v_mul_f16_e64 v56, v223, v59
	v_fmac_f16_e32 v54, v82, v44
	v_mul_f16_e64 v44, v223, v18
	v_lshrrev_b32_e32 v63, 16, v17
	v_fma_f16 v46, v82, v57, -v46
	v_mul_f16_e64 v57, v226, v60
	v_fmac_f16_e32 v56, v71, v18
	v_mul_f16_e64 v18, v226, v16
	v_fma_f16 v44, v71, v59, -v44
	v_mul_f16_e64 v59, v224, v62
	s_wait_dscnt 0x4
	v_lshrrev_b32_e32 v83, 16, v14
	s_wait_dscnt 0x3
	v_lshrrev_b32_e32 v84, 16, v12
	v_lshrrev_b32_e32 v87, 16, v15
	v_lshrrev_b32_e32 v88, 16, v13
	v_fmac_f16_e32 v57, v72, v16
	v_mul_f16_e64 v16, v224, v19
	v_fma_f16 v18, v72, v60, -v18
	v_mul_f16_e64 v60, v225, v63
	v_fmac_f16_e32 v59, v67, v19
	v_mul_f16_e64 v19, v225, v17
	s_wait_dscnt 0x1
	v_lshrrev_b32_e32 v90, 16, v10
	s_wait_dscnt 0x0
	v_lshrrev_b32_e32 v91, 16, v8
	v_fma_f16 v16, v67, v62, -v16
	v_mul_f16_e64 v62, v232, v83
	v_fmac_f16_e32 v60, v68, v17
	v_fma_f16 v19, v68, v63, -v19
	v_mul_f16_e64 v63, v231, v84
	v_mul_f16_e64 v67, v236, v87
	;; [unrolled: 1-line block ×3, first 2 shown]
	v_lshrrev_b32_e32 v94, 16, v11
	v_mul_f16_e64 v17, v232, v14
	v_fmac_f16_e32 v62, v75, v14
	v_mul_f16_e64 v14, v231, v12
	v_fmac_f16_e32 v63, v76, v12
	v_mul_f16_e64 v12, v236, v15
	v_fmac_f16_e32 v67, v77, v15
	v_mul_f16_e64 v15, v235, v13
	v_mul_f16_e64 v71, v238, v90
	v_fmac_f16_e32 v68, v78, v13
	v_mul_f16_e64 v13, v238, v10
	v_mul_f16_e64 v72, v237, v91
	v_lshrrev_b32_e32 v96, 16, v9
	v_fmac_f16_e32 v71, v73, v10
	v_mul_f16_e64 v10, v237, v8
	v_fma_f16 v13, v73, v90, -v13
	v_mul_f16_e64 v73, v240, v94
	v_fmac_f16_e32 v72, v74, v8
	v_mul_f16_e64 v8, v240, v11
	v_lshrrev_b32_e32 v48, 16, v6
	v_fma_f16 v10, v74, v91, -v10
	v_mul_f16_e64 v74, v239, v96
	v_fmac_f16_e32 v73, v69, v11
	v_mul_f16_e64 v11, v239, v9
	v_fma_f16 v8, v69, v94, -v8
	v_add_f16_e32 v69, v93, v97
	v_fmac_f16_e32 v74, v70, v9
	v_add_f16_e32 v9, v6, v93
	v_fma_f16 v11, v70, v96, -v11
	v_add_f16_e32 v70, v53, v45
	v_fma_f16 v6, -0.5, v69, v6
	v_sub_f16_e32 v69, v53, v45
	v_add_f16_e32 v53, v48, v53
	v_lshrrev_b32_e32 v55, 16, v7
	v_fmac_f16_e32 v48, -0.5, v70
	v_sub_f16_e32 v70, v93, v97
	v_fma_f16 v17, v75, v83, -v17
	v_add_f16_e32 v45, v53, v45
	v_add_f16_e32 v53, v79, v54
	v_fma_f16 v14, v76, v84, -v14
	v_fmamk_f16 v75, v69, 0xbaee, v6
	v_fmac_f16_e32 v6, 0x3aee, v69
	v_fmamk_f16 v69, v70, 0x3aee, v48
	v_add_f16_e32 v76, v7, v79
	v_fmac_f16_e32 v48, 0xbaee, v70
	v_add_f16_e32 v70, v43, v46
	v_fmac_f16_e32 v7, -0.5, v53
	v_sub_f16_e32 v53, v43, v46
	v_add_f16_e32 v43, v55, v43
	v_lshrrev_b32_e32 v58, 16, v4
	v_add_f16_e32 v76, v76, v54
	v_fmac_f16_e32 v55, -0.5, v70
	v_sub_f16_e32 v54, v79, v54
	v_add_f16_e32 v43, v43, v46
	v_add_f16_e32 v46, v56, v57
	v_fma_f16 v12, v77, v87, -v12
	v_fmamk_f16 v70, v53, 0xbaee, v7
	v_fmac_f16_e32 v7, 0x3aee, v53
	v_fmamk_f16 v53, v54, 0x3aee, v55
	v_add_f16_e32 v77, v4, v56
	v_fmac_f16_e32 v55, 0xbaee, v54
	v_add_f16_e32 v54, v44, v18
	v_fma_f16 v4, -0.5, v46, v4
	v_sub_f16_e32 v46, v44, v18
	v_add_f16_e32 v44, v58, v44
	v_lshrrev_b32_e32 v61, 16, v5
	v_fmac_f16_e32 v58, -0.5, v54
	v_sub_f16_e32 v54, v56, v57
	v_add_f16_e32 v77, v77, v57
	v_add_f16_e32 v18, v44, v18
	;; [unrolled: 1-line block ×3, first 2 shown]
	v_fmamk_f16 v56, v46, 0xbaee, v4
	v_fmac_f16_e32 v4, 0x3aee, v46
	v_fmamk_f16 v46, v54, 0x3aee, v58
	v_add_f16_e32 v57, v5, v59
	v_fmac_f16_e32 v58, 0xbaee, v54
	v_add_f16_e32 v54, v16, v19
	v_fmac_f16_e32 v5, -0.5, v44
	v_sub_f16_e32 v44, v16, v19
	v_add_f16_e32 v16, v61, v16
	v_lshrrev_b32_e32 v64, 16, v2
	v_fmac_f16_e32 v61, -0.5, v54
	v_sub_f16_e32 v54, v59, v60
	v_add_f16_e32 v57, v57, v60
	v_add_f16_e32 v16, v16, v19
	;; [unrolled: 1-line block ×3, first 2 shown]
	v_fmamk_f16 v59, v44, 0xbaee, v5
	v_fmac_f16_e32 v5, 0x3aee, v44
	v_fmamk_f16 v44, v54, 0x3aee, v61
	v_add_f16_e32 v60, v2, v62
	v_fmac_f16_e32 v61, 0xbaee, v54
	v_add_f16_e32 v54, v17, v14
	v_fma_f16 v2, -0.5, v19, v2
	v_sub_f16_e32 v19, v17, v14
	v_add_f16_e32 v17, v64, v17
	v_lshrrev_b32_e32 v85, 16, v3
	v_fma_f16 v15, v78, v88, -v15
	v_fmac_f16_e32 v64, -0.5, v54
	v_sub_f16_e32 v54, v62, v63
	v_add_f16_e32 v14, v17, v14
	v_add_f16_e32 v17, v67, v68
	;; [unrolled: 1-line block ×3, first 2 shown]
	v_fmamk_f16 v62, v19, 0xbaee, v2
	v_fmac_f16_e32 v2, 0x3aee, v19
	v_fmamk_f16 v19, v54, 0x3aee, v64
	v_add_f16_e32 v63, v3, v67
	v_fmac_f16_e32 v64, 0xbaee, v54
	v_add_f16_e32 v54, v12, v15
	v_fmac_f16_e32 v3, -0.5, v17
	v_sub_f16_e32 v17, v12, v15
	v_add_f16_e32 v12, v85, v12
	v_lshrrev_b32_e32 v89, 16, v0
	v_fmac_f16_e32 v85, -0.5, v54
	v_sub_f16_e32 v54, v67, v68
	v_add_f16_e32 v63, v63, v68
	v_add_f16_e32 v12, v12, v15
	;; [unrolled: 1-line block ×3, first 2 shown]
	v_fmamk_f16 v67, v17, 0xbaee, v3
	v_fmac_f16_e32 v3, 0x3aee, v17
	v_fmamk_f16 v17, v54, 0x3aee, v85
	v_add_f16_e32 v68, v0, v71
	v_fmac_f16_e32 v85, 0xbaee, v54
	v_add_f16_e32 v54, v13, v10
	v_fma_f16 v0, -0.5, v15, v0
	v_sub_f16_e32 v15, v13, v10
	v_add_f16_e32 v13, v89, v13
	v_lshrrev_b32_e32 v92, 16, v1
	v_fmac_f16_e32 v89, -0.5, v54
	v_sub_f16_e32 v54, v71, v72
	v_add_f16_e32 v9, v9, v97
	v_add_f16_e32 v10, v13, v10
	;; [unrolled: 1-line block ×4, first 2 shown]
	v_fmamk_f16 v71, v15, 0xbaee, v0
	v_fmac_f16_e32 v0, 0x3aee, v15
	v_fmamk_f16 v15, v54, 0x3aee, v89
	v_fmac_f16_e32 v89, 0xbaee, v54
	v_add_f16_e32 v54, v8, v11
	v_add_f16_e32 v72, v1, v73
	v_fmac_f16_e32 v1, -0.5, v13
	v_sub_f16_e32 v13, v8, v11
	v_add_f16_e32 v8, v92, v8
	v_fmac_f16_e32 v92, -0.5, v54
	v_sub_f16_e32 v54, v73, v74
	v_pack_b32_f16 v9, v9, v45
	v_fmamk_f16 v73, v13, 0xbaee, v1
	v_fmac_f16_e32 v1, 0x3aee, v13
	v_pack_b32_f16 v13, v75, v69
	global_wb scope:SCOPE_SE
	s_barrier_signal -1
	s_barrier_wait -1
	global_inv scope:SCOPE_SE
	ds_store_2addr_b32 v110, v9, v13 offset1:150
	v_pack_b32_f16 v9, v6, v48
	v_pack_b32_f16 v13, v76, v43
	;; [unrolled: 1-line block ×6, first 2 shown]
	v_add_nc_u32_e32 v6, 0x600, v110
	v_pack_b32_f16 v4, v4, v58
	ds_store_b32 v110, v9 offset:1200
	ds_store_2addr_b32 v190, v13, v43 offset1:150
	ds_store_b32 v190, v7 offset:1200
	ds_store_2addr_b32 v6, v18, v45 offset0:96 offset1:246
	ds_store_b32 v110, v4 offset:3120
	v_pack_b32_f16 v4, v57, v16
	v_pack_b32_f16 v7, v59, v44
	;; [unrolled: 1-line block ×3, first 2 shown]
	v_add_f16_e32 v72, v72, v74
	v_add_f16_e32 v8, v8, v11
	v_fmamk_f16 v11, v54, 0x3aee, v92
	v_pack_b32_f16 v9, v60, v14
	v_pack_b32_f16 v13, v62, v19
	v_add_nc_u32_e32 v14, 0xe00, v214
	v_fmac_f16_e32 v92, 0xbaee, v54
	v_pack_b32_f16 v12, v63, v12
	v_pack_b32_f16 v16, v67, v17
	v_add_nc_u32_e32 v17, 0x1400, v216
	v_pack_b32_f16 v2, v2, v64
	v_pack_b32_f16 v3, v3, v85
	ds_store_2addr_b32 v213, v4, v7 offset1:150
	ds_store_b32 v213, v5 offset:1200
	ds_store_2addr_b32 v14, v9, v13 offset0:4 offset1:154
	v_pack_b32_f16 v4, v68, v10
	v_pack_b32_f16 v5, v71, v15
	;; [unrolled: 1-line block ×5, first 2 shown]
	v_add_nc_u32_e32 v9, 0x1c00, v222
	ds_store_2addr_b32 v17, v12, v16 offset0:70 offset1:220
	v_pack_b32_f16 v1, v1, v92
	ds_store_b32 v214, v2 offset:4800
	ds_store_b32 v216, v3 offset:6600
	ds_store_2addr_b32 v218, v4, v5 offset1:150
	ds_store_b32 v218, v0 offset:1200
	ds_store_2addr_b32 v9, v7, v8 offset0:8 offset1:158
	ds_store_b32 v222, v1 offset:8400
	s_and_saveexec_b32 s1, s0
	s_cbranch_execz .LBB0_29
; %bb.28:
	scratch_load_b32 v5, off, off offset:36 th:TH_LOAD_LU ; 4-byte Folded Reload
	v_lshrrev_b32_e32 v2, 16, v65
	v_lshrrev_b32_e32 v3, 16, v66
	s_delay_alu instid0(VALU_DEP_2) | instskip(NEXT) | instid1(VALU_DEP_2)
	v_mul_f16_e32 v0, v2, v50
	v_mul_f16_e32 v1, v3, v49
	;; [unrolled: 1-line block ×4, first 2 shown]
	s_delay_alu instid0(VALU_DEP_4) | instskip(NEXT) | instid1(VALU_DEP_4)
	v_fma_f16 v0, v65, v52, -v0
	v_fma_f16 v1, v66, v51, -v1
	s_delay_alu instid0(VALU_DEP_4) | instskip(NEXT) | instid1(VALU_DEP_4)
	v_fmac_f16_e32 v2, v65, v50
	v_fmac_f16_e32 v3, v66, v49
	s_delay_alu instid0(VALU_DEP_4) | instskip(NEXT) | instid1(VALU_DEP_4)
	v_add_f16_e32 v9, v86, v0
	v_add_f16_e32 v4, v0, v1
	v_sub_f16_e32 v0, v0, v1
	s_delay_alu instid0(VALU_DEP_4)
	v_add_f16_e32 v7, v2, v3
	v_sub_f16_e32 v8, v2, v3
	v_add_f16_e32 v2, v47, v2
	v_fma_f16 v4, -0.5, v4, v86
	v_add_f16_e32 v1, v9, v1
	v_fma_f16 v7, -0.5, v7, v47
	s_delay_alu instid0(VALU_DEP_4) | instskip(NEXT) | instid1(VALU_DEP_4)
	v_add_f16_e32 v2, v2, v3
	v_fmamk_f16 v9, v8, 0xbaee, v4
	v_fmac_f16_e32 v4, 0x3aee, v8
	s_delay_alu instid0(VALU_DEP_4) | instskip(SKIP_2) | instid1(VALU_DEP_3)
	v_fmamk_f16 v8, v0, 0x3aee, v7
	v_fmac_f16_e32 v7, 0xbaee, v0
	v_pack_b32_f16 v1, v2, v1
	v_pack_b32_f16 v3, v8, v9
	s_delay_alu instid0(VALU_DEP_3) | instskip(SKIP_2) | instid1(VALU_DEP_1)
	v_pack_b32_f16 v2, v7, v4
	s_wait_loadcnt 0x0
	v_lshlrev_b32_e32 v5, 2, v5
	v_add_nc_u32_e32 v0, 0x1c00, v5
	ds_store_2addr_b32 v0, v1, v2 offset0:8 offset1:158
	ds_store_b32 v5, v3 offset:8400
.LBB0_29:
	s_wait_alu 0xfffe
	s_or_b32 exec_lo, exec_lo, s1
	v_add_nc_u32_e32 v0, 0x400, v110
	v_add_nc_u32_e32 v9, 0xc00, v110
	;; [unrolled: 1-line block ×3, first 2 shown]
	global_wb scope:SCOPE_SE
	s_wait_dscnt 0x0
	s_barrier_signal -1
	s_barrier_wait -1
	global_inv scope:SCOPE_SE
	ds_load_2addr_b32 v[2:3], v110 offset1:90
	ds_load_2addr_b32 v[0:1], v0 offset0:104 offset1:194
	ds_load_2addr_b32 v[44:45], v9 offset0:132 offset1:222
	;; [unrolled: 1-line block ×3, first 2 shown]
	v_add_nc_u32_e32 v14, 0x1c00, v110
	v_add_nc_u32_e32 v17, 0x800, v110
	;; [unrolled: 1-line block ×5, first 2 shown]
	ds_load_2addr_b32 v[48:49], v14 offset0:8 offset1:98
	ds_load_2addr_b32 v[50:51], v17 offset0:28 offset1:118
	;; [unrolled: 1-line block ×3, first 2 shown]
	v_add_nc_u32_e32 v10, 0x1e00, v110
	v_add_nc_u32_e32 v11, 0xa00, v110
	v_add_nc_u32_e32 v15, 0x1800, v110
	ds_load_2addr_b32 v[54:55], v8 offset0:56 offset1:146
	ds_load_2addr_b32 v[4:5], v7 offset0:52 offset1:142
	;; [unrolled: 1-line block ×5, first 2 shown]
	ds_load_b32 v66, v110 offset:8640
	s_mov_b32 s10, 0x5a912e32
	s_mov_b32 s11, 0x3f3d208a
	s_wait_dscnt 0xb
	v_lshrrev_b32_e32 v62, 16, v1
	s_wait_dscnt 0xa
	v_lshrrev_b32_e32 v63, 16, v44
	;; [unrolled: 2-line block ×3, first 2 shown]
	v_mul_f16_e64 v85, v233, v44
	v_lshrrev_b32_e32 v68, 16, v45
	v_mul_f16_e64 v79, v242, v62
	v_mul_f16_e64 v84, v233, v63
	;; [unrolled: 1-line block ×3, first 2 shown]
	s_wait_dscnt 0x8
	v_lshrrev_b32_e32 v65, 16, v48
	s_wait_dscnt 0x7
	v_lshrrev_b32_e32 v67, 16, v50
	v_fmac_f16_e32 v79, v20, v1
	v_mul_f16_e64 v1, v242, v1
	v_mul_f16_e64 v87, v241, v47
	v_fmac_f16_e32 v84, v21, v44
	v_fma_f16 v44, v21, v63, -v85
	v_mul_f16_e64 v63, v230, v65
	v_fma_f16 v62, v20, v62, -v1
	v_mul_f16_e64 v1, v230, v48
	s_wait_dscnt 0x6
	v_lshrrev_b32_e32 v69, 16, v52
	v_lshrrev_b32_e32 v70, 16, v49
	;; [unrolled: 1-line block ×3, first 2 shown]
	v_fmac_f16_e32 v86, v22, v47
	v_fma_f16 v47, v22, v64, -v87
	v_mul_f16_e64 v64, v234, v67
	v_mul_f16_e64 v20, v234, v50
	;; [unrolled: 1-line block ×3, first 2 shown]
	v_fmac_f16_e32 v63, v23, v48
	v_fma_f16 v48, v23, v65, -v1
	v_mul_f16_e64 v1, v228, v45
	s_wait_dscnt 0x5
	v_lshrrev_b32_e32 v72, 16, v54
	v_lshrrev_b32_e32 v73, 16, v53
	s_wait_dscnt 0x3
	v_lshrrev_b32_e32 v74, 16, v56
	v_fmac_f16_e32 v64, v24, v50
	v_fma_f16 v50, v24, v67, -v20
	v_fmac_f16_e32 v85, v25, v45
	v_mul_f16_e64 v45, v229, v69
	v_mul_f16_e64 v20, v229, v52
	;; [unrolled: 1-line block ×4, first 2 shown]
	v_fma_f16 v67, v25, v68, -v1
	v_mul_f16_e64 v68, v244, v71
	v_mul_f16_e64 v1, v244, v51
	v_lshrrev_b32_e32 v76, 16, v55
	v_fmac_f16_e32 v45, v26, v52
	v_fma_f16 v52, v26, v69, -v20
	v_fmac_f16_e32 v65, v27, v49
	v_fma_f16 v49, v27, v70, -v21
	v_mul_f16_e64 v69, v246, v72
	v_mul_f16_e64 v20, v246, v54
	v_mul_f16_e64 v70, v243, v73
	v_fmac_f16_e32 v68, v32, v51
	v_fma_f16 v32, v32, v71, -v1
	v_mul_f16_e64 v1, v243, v53
	v_mul_f16_e64 v51, v245, v74
	s_wait_dscnt 0x2
	v_lshrrev_b32_e32 v75, 16, v58
	v_lshrrev_b32_e32 v78, 16, v57
	v_fmac_f16_e32 v69, v33, v54
	v_fma_f16 v33, v33, v72, -v20
	v_fmac_f16_e32 v70, v34, v53
	v_mul_f16_e64 v20, v245, v56
	v_fma_f16 v34, v34, v73, -v1
	v_fmac_f16_e32 v51, v35, v56
	v_mul_f16_e64 v56, v252, v76
	v_mul_f16_e64 v1, v252, v55
	s_wait_dscnt 0x1
	v_lshrrev_b32_e32 v77, 16, v60
	v_lshrrev_b32_e32 v81, 16, v46
	v_mul_f16_e64 v53, v253, v75
	v_mul_f16_e64 v21, v253, v58
	;; [unrolled: 1-line block ×3, first 2 shown]
	v_fmac_f16_e32 v56, v29, v55
	v_fma_f16 v55, v29, v76, -v1
	v_mul_f16_e64 v1, v249, v57
	v_lshrrev_b32_e32 v80, 16, v59
	v_lshrrev_b32_e32 v82, 16, v61
	v_fma_f16 v35, v35, v74, -v20
	v_fmac_f16_e32 v53, v28, v58
	v_fma_f16 v54, v28, v75, -v21
	v_mul_f16_e64 v58, v254, v77
	v_mul_f16_e64 v20, v254, v60
	v_fmac_f16_e32 v71, v31, v57
	v_mul_f16_e64 v22, v251, v81
	v_mul_f16_e64 v21, v251, v46
	v_fma_f16 v31, v31, v78, -v1
	v_add_f16_e32 v1, v84, v86
	v_lshrrev_b32_e32 v43, 16, v2
	s_wait_dscnt 0x0
	v_lshrrev_b32_e32 v83, 16, v66
	v_fmac_f16_e32 v58, v30, v60
	v_fma_f16 v30, v30, v77, -v20
	v_mul_f16_e64 v24, v250, v80
	v_mul_f16_e64 v20, v250, v59
	v_fmac_f16_e32 v22, v37, v46
	v_fma_f16 v21, v37, v81, -v21
	v_mul_f16_e64 v26, v248, v82
	v_mul_f16_e64 v23, v248, v61
	v_fma_f16 v1, -0.5, v1, v2
	v_sub_f16_e32 v37, v62, v48
	v_sub_f16_e32 v28, v79, v84
	;; [unrolled: 1-line block ×3, first 2 shown]
	v_add_f16_e32 v46, v79, v63
	v_mul_f16_e64 v57, v247, v66
	v_fmac_f16_e32 v24, v36, v59
	v_fma_f16 v20, v36, v80, -v20
	v_mul_f16_e64 v36, v247, v83
	v_add_f16_e32 v27, v2, v79
	v_fmac_f16_e32 v26, v38, v61
	v_fma_f16 v25, v38, v82, -v23
	v_fmamk_f16 v23, v37, 0xbb9c, v1
	v_sub_f16_e32 v38, v44, v47
	v_add_f16_e32 v59, v28, v29
	v_fma_f16 v2, -0.5, v46, v2
	v_fma_f16 v29, v39, v83, -v57
	v_fmac_f16_e32 v1, 0x3b9c, v37
	v_add_f16_e32 v57, v43, v62
	v_fmac_f16_e32 v36, v39, v66
	v_add_f16_e32 v27, v27, v84
	v_fmac_f16_e32 v23, 0xb8b4, v38
	v_fmamk_f16 v28, v38, 0x3b9c, v2
	v_sub_f16_e32 v39, v84, v79
	v_sub_f16_e32 v46, v86, v63
	v_fmac_f16_e32 v1, 0x38b4, v38
	v_add_f16_e32 v60, v44, v47
	v_fmac_f16_e32 v2, 0xbb9c, v38
	v_add_f16_e32 v38, v57, v44
	v_add_f16_e32 v27, v27, v86
	v_fmac_f16_e32 v23, 0x34f2, v59
	v_fmac_f16_e32 v28, 0xb8b4, v37
	v_add_f16_e32 v39, v39, v46
	v_fma_f16 v46, -0.5, v60, v43
	v_sub_f16_e32 v57, v79, v63
	v_fmac_f16_e32 v1, 0x34f2, v59
	v_fmac_f16_e32 v2, 0x38b4, v37
	v_add_f16_e32 v37, v38, v47
	v_add_f16_e32 v59, v62, v48
	;; [unrolled: 1-line block ×3, first 2 shown]
	v_fmamk_f16 v38, v57, 0x3b9c, v46
	v_sub_f16_e32 v60, v84, v86
	v_sub_f16_e32 v61, v62, v44
	;; [unrolled: 1-line block ×3, first 2 shown]
	v_fmac_f16_e32 v43, -0.5, v59
	v_add_f16_e32 v37, v37, v48
	v_fmac_f16_e32 v46, 0xbb9c, v57
	v_sub_f16_e32 v44, v44, v62
	v_sub_f16_e32 v47, v47, v48
	v_add_f16_e32 v48, v85, v45
	v_lshrrev_b32_e32 v19, 16, v3
	v_fmac_f16_e32 v28, 0x34f2, v39
	v_fmac_f16_e32 v2, 0x34f2, v39
	;; [unrolled: 1-line block ×3, first 2 shown]
	v_add_f16_e32 v39, v61, v63
	v_fmamk_f16 v59, v60, 0xbb9c, v43
	v_fmac_f16_e32 v46, 0xb8b4, v60
	v_add_f16_e32 v44, v44, v47
	v_add_f16_e32 v47, v3, v64
	v_fma_f16 v48, -0.5, v48, v3
	v_sub_f16_e32 v61, v50, v49
	v_fmac_f16_e32 v43, 0x3b9c, v60
	v_add_f16_e32 v66, v64, v65
	v_fmac_f16_e32 v38, 0x34f2, v39
	v_fmac_f16_e32 v59, 0x38b4, v57
	;; [unrolled: 1-line block ×3, first 2 shown]
	v_add_f16_e32 v39, v47, v85
	v_fmamk_f16 v47, v61, 0xbb9c, v48
	v_sub_f16_e32 v60, v67, v52
	v_sub_f16_e32 v62, v64, v85
	;; [unrolled: 1-line block ×3, first 2 shown]
	v_fmac_f16_e32 v43, 0xb8b4, v57
	v_fmac_f16_e32 v3, -0.5, v66
	v_fmac_f16_e32 v48, 0x3b9c, v61
	v_add_f16_e32 v66, v19, v50
	v_fmac_f16_e32 v59, 0x34f2, v44
	v_fmac_f16_e32 v47, 0xb8b4, v60
	v_add_f16_e32 v57, v62, v63
	v_fmac_f16_e32 v43, 0x34f2, v44
	v_fmamk_f16 v44, v60, 0x3b9c, v3
	v_sub_f16_e32 v62, v85, v64
	v_sub_f16_e32 v63, v45, v65
	v_fmac_f16_e32 v48, 0x38b4, v60
	v_add_f16_e32 v72, v67, v52
	v_fmac_f16_e32 v3, 0xbb9c, v60
	v_add_f16_e32 v60, v66, v67
	v_add_f16_e32 v39, v39, v45
	v_fmac_f16_e32 v47, 0x34f2, v57
	v_fmac_f16_e32 v44, 0xb8b4, v61
	v_add_f16_e32 v62, v62, v63
	v_fma_f16 v63, -0.5, v72, v19
	v_sub_f16_e32 v64, v64, v65
	v_fmac_f16_e32 v48, 0x34f2, v57
	v_fmac_f16_e32 v3, 0x38b4, v61
	v_add_f16_e32 v57, v60, v52
	v_add_f16_e32 v61, v50, v49
	;; [unrolled: 1-line block ×3, first 2 shown]
	v_fmamk_f16 v60, v64, 0x3b9c, v63
	v_sub_f16_e32 v45, v85, v45
	v_sub_f16_e32 v65, v50, v67
	;; [unrolled: 1-line block ×3, first 2 shown]
	v_fmac_f16_e32 v19, -0.5, v61
	v_add_f16_e32 v57, v57, v49
	v_fmac_f16_e32 v63, 0xbb9c, v64
	v_sub_f16_e32 v50, v67, v50
	v_sub_f16_e32 v49, v52, v49
	v_fmac_f16_e32 v44, 0x34f2, v62
	v_fmac_f16_e32 v3, 0x34f2, v62
	;; [unrolled: 1-line block ×3, first 2 shown]
	v_add_f16_e32 v61, v65, v66
	v_fmamk_f16 v62, v45, 0xbb9c, v19
	v_add_f16_e32 v52, v69, v70
	v_fmac_f16_e32 v63, 0xb8b4, v45
	v_add_f16_e32 v49, v50, v49
	v_add_f16_e32 v50, v4, v68
	v_fmac_f16_e32 v19, 0x3b9c, v45
	v_add_f16_e32 v72, v68, v51
	v_lshrrev_b32_e32 v18, 16, v4
	v_fmac_f16_e32 v60, 0x34f2, v61
	v_fmac_f16_e32 v62, 0x38b4, v64
	v_fma_f16 v52, -0.5, v52, v4
	v_sub_f16_e32 v65, v32, v35
	v_fmac_f16_e32 v63, 0x34f2, v61
	v_add_f16_e32 v45, v50, v69
	v_sub_f16_e32 v61, v33, v34
	v_sub_f16_e32 v66, v68, v69
	;; [unrolled: 1-line block ×3, first 2 shown]
	v_fmac_f16_e32 v19, 0xb8b4, v64
	v_fma_f16 v4, -0.5, v72, v4
	v_fmac_f16_e32 v62, 0x34f2, v49
	v_fmamk_f16 v50, v65, 0xbb9c, v52
	v_add_f16_e32 v45, v45, v70
	v_add_f16_e32 v64, v66, v67
	v_fmac_f16_e32 v19, 0x34f2, v49
	v_fmac_f16_e32 v52, 0x3b9c, v65
	v_fmamk_f16 v49, v61, 0x3b9c, v4
	v_sub_f16_e32 v66, v69, v68
	v_sub_f16_e32 v67, v70, v51
	v_add_f16_e32 v72, v18, v32
	v_add_f16_e32 v73, v33, v34
	v_fmac_f16_e32 v4, 0xbb9c, v61
	v_fmac_f16_e32 v50, 0xb8b4, v61
	v_add_f16_e32 v45, v45, v51
	v_fmac_f16_e32 v52, 0x38b4, v61
	v_fmac_f16_e32 v49, 0xb8b4, v65
	v_add_f16_e32 v66, v66, v67
	v_add_f16_e32 v61, v72, v33
	v_fma_f16 v67, -0.5, v73, v18
	v_sub_f16_e32 v51, v68, v51
	v_fmac_f16_e32 v4, 0x38b4, v65
	v_add_f16_e32 v65, v32, v35
	v_sub_f16_e32 v68, v69, v70
	v_sub_f16_e32 v69, v32, v33
	;; [unrolled: 1-line block ×4, first 2 shown]
	v_fmac_f16_e32 v50, 0x34f2, v64
	v_fmac_f16_e32 v52, 0x34f2, v64
	v_add_f16_e32 v61, v61, v34
	v_fmamk_f16 v64, v51, 0x3b9c, v67
	v_sub_f16_e32 v70, v35, v34
	v_fmac_f16_e32 v18, -0.5, v65
	v_fmac_f16_e32 v67, 0xbb9c, v51
	v_add_f16_e32 v34, v56, v58
	v_add_f16_e32 v32, v32, v33
	;; [unrolled: 1-line block ×3, first 2 shown]
	v_lshrrev_b32_e32 v13, 16, v5
	v_fmac_f16_e32 v49, 0x34f2, v66
	v_fmac_f16_e32 v4, 0x34f2, v66
	v_add_f16_e32 v61, v61, v35
	v_fmac_f16_e32 v64, 0x38b4, v68
	v_add_f16_e32 v65, v69, v70
	v_fmamk_f16 v66, v68, 0xbb9c, v18
	v_fmac_f16_e32 v67, 0xb8b4, v68
	v_fma_f16 v34, -0.5, v34, v5
	v_sub_f16_e32 v35, v54, v31
	v_fmac_f16_e32 v18, 0x3b9c, v68
	v_add_f16_e32 v33, v33, v56
	v_add_f16_e32 v72, v53, v71
	v_fmac_f16_e32 v64, 0x34f2, v65
	v_fmac_f16_e32 v66, 0x38b4, v51
	;; [unrolled: 1-line block ×3, first 2 shown]
	v_fmamk_f16 v65, v35, 0xbb9c, v34
	v_sub_f16_e32 v68, v55, v30
	v_sub_f16_e32 v69, v53, v56
	;; [unrolled: 1-line block ×3, first 2 shown]
	v_fmac_f16_e32 v18, 0xb8b4, v51
	v_add_f16_e32 v33, v33, v58
	v_fmac_f16_e32 v5, -0.5, v72
	v_fmac_f16_e32 v34, 0x3b9c, v35
	v_add_f16_e32 v72, v13, v54
	v_fmac_f16_e32 v66, 0x34f2, v32
	v_fmac_f16_e32 v65, 0xb8b4, v68
	v_add_f16_e32 v51, v69, v70
	v_fmac_f16_e32 v18, 0x34f2, v32
	v_add_f16_e32 v32, v33, v71
	v_fmamk_f16 v33, v68, 0x3b9c, v5
	v_sub_f16_e32 v69, v56, v53
	v_sub_f16_e32 v70, v58, v71
	v_fmac_f16_e32 v34, 0x38b4, v68
	v_add_f16_e32 v73, v55, v30
	v_fmac_f16_e32 v5, 0xbb9c, v68
	v_add_f16_e32 v68, v72, v55
	;; [unrolled: 2-line block ×3, first 2 shown]
	v_fma_f16 v70, -0.5, v73, v13
	v_sub_f16_e32 v53, v53, v71
	v_fmac_f16_e32 v5, 0x38b4, v35
	v_add_f16_e32 v35, v68, v30
	v_add_f16_e32 v68, v54, v31
	v_fmac_f16_e32 v65, 0x34f2, v51
	v_fmac_f16_e32 v34, 0x34f2, v51
	v_fmamk_f16 v51, v53, 0x3b9c, v70
	v_sub_f16_e32 v56, v56, v58
	v_sub_f16_e32 v58, v54, v55
	;; [unrolled: 1-line block ×3, first 2 shown]
	v_fmac_f16_e32 v13, -0.5, v68
	v_add_f16_e32 v35, v35, v31
	v_fmac_f16_e32 v70, 0xbb9c, v53
	v_sub_f16_e32 v54, v55, v54
	v_sub_f16_e32 v30, v30, v31
	v_add_f16_e32 v31, v22, v26
	v_fmac_f16_e32 v51, 0x38b4, v56
	v_add_f16_e32 v58, v58, v71
	v_fmamk_f16 v68, v56, 0xbb9c, v13
	v_fmac_f16_e32 v70, 0xb8b4, v56
	v_add_f16_e32 v30, v54, v30
	v_fmac_f16_e32 v13, 0x3b9c, v56
	v_add_f16_e32 v54, v0, v24
	v_fma_f16 v31, -0.5, v31, v0
	v_sub_f16_e32 v55, v20, v29
	v_fmac_f16_e32 v33, 0x34f2, v69
	v_fmac_f16_e32 v5, 0x34f2, v69
	;; [unrolled: 1-line block ×6, first 2 shown]
	v_add_f16_e32 v53, v54, v22
	v_fmamk_f16 v54, v55, 0xbb9c, v31
	v_sub_f16_e32 v56, v21, v25
	v_sub_f16_e32 v58, v24, v22
	;; [unrolled: 1-line block ×3, first 2 shown]
	v_fmac_f16_e32 v31, 0x3b9c, v55
	v_add_f16_e32 v71, v24, v36
	v_lshrrev_b32_e32 v12, 16, v0
	v_add_f16_e32 v53, v53, v26
	v_fmac_f16_e32 v54, 0xb8b4, v56
	v_add_f16_e32 v58, v58, v69
	v_fmac_f16_e32 v31, 0x38b4, v56
	v_fmac_f16_e32 v0, -0.5, v71
	v_sub_f16_e32 v69, v22, v24
	v_sub_f16_e32 v71, v26, v36
	v_fmac_f16_e32 v68, 0x34f2, v30
	v_fmac_f16_e32 v13, 0x34f2, v30
	v_add_f16_e32 v30, v53, v36
	v_fmac_f16_e32 v54, 0x34f2, v58
	v_fmac_f16_e32 v31, 0x34f2, v58
	v_fmamk_f16 v53, v56, 0x3b9c, v0
	v_add_f16_e32 v58, v21, v25
	v_fmac_f16_e32 v0, 0xbb9c, v56
	v_sub_f16_e32 v24, v24, v36
	v_add_f16_e32 v36, v69, v71
	v_add_f16_e32 v69, v20, v29
	;; [unrolled: 1-line block ×3, first 2 shown]
	v_fma_f16 v58, -0.5, v58, v12
	v_fmac_f16_e32 v53, 0xb8b4, v55
	v_fmac_f16_e32 v0, 0x38b4, v55
	v_sub_f16_e32 v22, v22, v26
	v_fmac_f16_e32 v12, -0.5, v69
	v_add_f16_e32 v55, v56, v21
	v_fmac_f16_e32 v53, 0x34f2, v36
	v_fmac_f16_e32 v0, 0x34f2, v36
	v_sub_f16_e32 v36, v20, v21
	v_fmamk_f16 v69, v22, 0xbb9c, v12
	v_sub_f16_e32 v20, v21, v20
	v_sub_f16_e32 v21, v25, v29
	v_fmac_f16_e32 v12, 0x3b9c, v22
	v_fmamk_f16 v56, v24, 0x3b9c, v58
	v_fmac_f16_e32 v58, 0xbb9c, v24
	v_fmac_f16_e32 v69, 0x38b4, v24
	v_add_f16_e32 v20, v20, v21
	v_fmac_f16_e32 v12, 0xb8b4, v24
	v_add_f16_e32 v26, v55, v25
	v_fmac_f16_e32 v56, 0x38b4, v22
	v_sub_f16_e32 v55, v29, v25
	v_fmac_f16_e32 v58, 0xb8b4, v22
	v_pack_b32_f16 v22, v23, v38
	v_pack_b32_f16 v23, v28, v59
	;; [unrolled: 1-line block ×4, first 2 shown]
	v_fmac_f16_e32 v69, 0x34f2, v20
	v_fmac_f16_e32 v12, 0x34f2, v20
	v_pack_b32_f16 v20, v27, v37
	v_pack_b32_f16 v24, v39, v57
	v_add_f16_e32 v25, v36, v55
	ds_store_b32 v110, v22 offset:1800
	ds_store_b32 v110, v23 offset:3600
	;; [unrolled: 1-line block ×4, first 2 shown]
	ds_store_2addr_b32 v110, v20, v24 offset1:90
	v_pack_b32_f16 v1, v44, v62
	v_pack_b32_f16 v2, v3, v19
	;; [unrolled: 1-line block ×5, first 2 shown]
	v_fmac_f16_e32 v56, 0x34f2, v25
	ds_store_b32 v110, v1 offset:3960
	ds_store_b32 v110, v2 offset:5760
	;; [unrolled: 1-line block ×3, first 2 shown]
	v_pack_b32_f16 v1, v45, v61
	ds_store_2addr_b32 v17, v19, v20 offset0:28 offset1:118
	v_pack_b32_f16 v2, v49, v66
	v_pack_b32_f16 v3, v4, v18
	;; [unrolled: 1-line block ×4, first 2 shown]
	v_add_f16_e32 v21, v26, v29
	v_pack_b32_f16 v5, v5, v13
	v_add_nc_u32_e32 v13, 0x1600, v110
	v_pack_b32_f16 v4, v52, v67
	v_pack_b32_f16 v20, v34, v70
	v_fmac_f16_e32 v58, 0x34f2, v25
	ds_store_2addr_b32 v7, v1, v18 offset0:52 offset1:142
	v_pack_b32_f16 v1, v65, v51
	ds_store_2addr_b32 v8, v2, v19 offset0:56 offset1:146
	ds_store_2addr_b32 v13, v3, v5 offset0:122 offset1:212
	;; [unrolled: 1-line block ×3, first 2 shown]
	v_pack_b32_f16 v2, v54, v56
	v_pack_b32_f16 v3, v30, v21
	;; [unrolled: 1-line block ×5, first 2 shown]
	ds_store_2addr_b32 v11, v1, v2 offset0:80 offset1:170
	ds_store_b32 v110, v3 offset:1440
	ds_store_b32 v110, v4 offset:5040
	;; [unrolled: 1-line block ×4, first 2 shown]
	global_wb scope:SCOPE_SE
	s_wait_dscnt 0x0
	s_barrier_signal -1
	s_barrier_wait -1
	global_inv scope:SCOPE_SE
	ds_load_2addr_b32 v[12:13], v110 offset1:90
	v_lshrrev_b32_e32 v3, 16, v147
	v_lshrrev_b32_e32 v27, 16, v148
	;; [unrolled: 1-line block ×4, first 2 shown]
	s_wait_dscnt 0x0
	v_lshrrev_b32_e32 v2, 16, v12
	s_delay_alu instid0(VALU_DEP_1) | instskip(SKIP_1) | instid1(VALU_DEP_2)
	v_mul_f16_e32 v0, v3, v2
	v_mul_f16_e32 v3, v3, v12
	v_fmac_f16_e64 v0, v147, v12
	s_delay_alu instid0(VALU_DEP_2) | instskip(SKIP_3) | instid1(VALU_DEP_2)
	v_fma_f16 v2, v147, v2, -v3
	ds_load_2addr_b32 v[11:12], v7 offset0:97 offset1:187
	v_cvt_f32_f16_e32 v0, v0
	v_cvt_f32_f16_e32 v2, v2
	v_cvt_f64_f32_e32 v[0:1], v0
	s_delay_alu instid0(VALU_DEP_2) | instskip(SKIP_2) | instid1(VALU_DEP_1)
	v_cvt_f64_f32_e32 v[2:3], v2
	s_wait_dscnt 0x0
	v_lshrrev_b32_e32 v7, 16, v11
	v_mul_f16_e32 v4, v27, v7
	s_delay_alu instid0(VALU_DEP_1) | instskip(SKIP_1) | instid1(VALU_DEP_2)
	v_fmac_f16_e64 v4, v148, v11
	v_mul_f16_e32 v11, v27, v11
	v_cvt_f32_f16_e32 v4, v4
	s_delay_alu instid0(VALU_DEP_1) | instskip(SKIP_3) | instid1(VALU_DEP_2)
	v_cvt_f64_f32_e32 v[4:5], v4
	s_wait_alu 0xfffe
	v_mul_f64_e32 v[0:1], s[10:11], v[0:1]
	v_mul_f64_e32 v[2:3], s[10:11], v[2:3]
	v_and_or_b32 v0, 0x1ff, v1, v0
	v_lshrrev_b32_e32 v18, 8, v1
	v_bfe_u32 v19, v1, 20, 11
	s_delay_alu instid0(VALU_DEP_4)
	v_and_or_b32 v2, 0x1ff, v3, v2
	v_lshrrev_b32_e32 v21, 8, v3
	v_cmp_ne_u32_e64 s0, 0, v0
	v_bfe_u32 v22, v3, 20, 11
	v_add_nc_u32_e32 v25, 0xfffffc10, v19
	v_lshrrev_b32_e32 v3, 16, v3
	s_wait_alu 0xf1ff
	v_cndmask_b32_e64 v0, 0, 1, s0
	v_cmp_ne_u32_e64 s0, 0, v2
	s_delay_alu instid0(VALU_DEP_2) | instskip(SKIP_2) | instid1(VALU_DEP_3)
	v_and_or_b32 v24, 0xffe, v18, v0
	v_sub_nc_u32_e32 v0, 0x3f1, v19
	s_wait_alu 0xf1ff
	v_cndmask_b32_e64 v2, 0, 1, s0
	s_delay_alu instid0(VALU_DEP_3) | instskip(NEXT) | instid1(VALU_DEP_3)
	v_or_b32_e32 v18, 0x1000, v24
	v_med3_i32 v0, v0, 0, 13
	s_delay_alu instid0(VALU_DEP_3) | instskip(SKIP_2) | instid1(VALU_DEP_4)
	v_and_or_b32 v2, 0xffe, v21, v2
	v_sub_nc_u32_e32 v21, 0x3f1, v22
	v_lshl_or_b32 v27, v25, 12, v24
	v_lshrrev_b32_e32 v20, v0, v18
	s_delay_alu instid0(VALU_DEP_4) | instskip(NEXT) | instid1(VALU_DEP_4)
	v_or_b32_e32 v23, 0x1000, v2
	v_med3_i32 v26, v21, 0, 13
	s_delay_alu instid0(VALU_DEP_3) | instskip(NEXT) | instid1(VALU_DEP_2)
	v_lshlrev_b32_e32 v0, v0, v20
	v_lshrrev_b32_e32 v28, v26, v23
	s_delay_alu instid0(VALU_DEP_2) | instskip(SKIP_2) | instid1(VALU_DEP_2)
	v_cmp_ne_u32_e64 s0, v0, v18
	v_mad_co_u64_u32 v[18:19], null, s6, v42, 0
	s_wait_alu 0xf1ff
	v_cndmask_b32_e64 v0, 0, 1, s0
	v_cmp_gt_i32_e64 s0, 1, v25
	s_delay_alu instid0(VALU_DEP_2)
	v_or_b32_e32 v0, v20, v0
	v_mul_f64_e32 v[20:21], s[10:11], v[4:5]
	v_fma_f16 v4, v148, v7, -v11
	v_lshlrev_b32_e32 v5, v26, v28
	v_add_nc_u32_e32 v26, 0xfffffc10, v22
	s_wait_alu 0xf1ff
	v_cndmask_b32_e64 v11, v27, v0, s0
	v_mov_b32_e32 v0, v19
	v_cvt_f32_f16_e32 v4, v4
	v_cmp_ne_u32_e64 s0, v5, v23
	v_cmp_gt_i32_e64 s2, 1, v26
	v_and_b32_e32 v7, 7, v11
	v_lshrrev_b32_e32 v11, 2, v11
	v_cvt_f64_f32_e32 v[4:5], v4
	s_wait_alu 0xf1ff
	v_cndmask_b32_e64 v19, 0, 1, s0
	v_mad_co_u64_u32 v[22:23], null, s7, v42, v[0:1]
	v_cmp_lt_i32_e64 s0, 5, v7
	v_cmp_eq_u32_e64 s1, 3, v7
	s_delay_alu instid0(VALU_DEP_4)
	v_or_b32_e32 v0, v28, v19
	v_lshl_or_b32 v19, v26, 12, v2
	ds_load_2addr_b32 v[6:7], v6 offset0:66 offset1:156
	v_lshrrev_b32_e32 v1, 16, v1
	s_or_b32 s0, s1, s0
	s_wait_alu 0xfffe
	v_add_co_ci_u32_e64 v11, s0, 0, v11, s0
	v_cndmask_b32_e64 v0, v19, v0, s2
	v_cmp_ne_u32_e64 s0, 0, v24
	v_cmp_eq_u32_e64 s2, 0x40f, v25
	s_delay_alu instid0(VALU_DEP_3) | instskip(SKIP_1) | instid1(VALU_DEP_3)
	v_and_b32_e32 v23, 7, v0
	s_wait_alu 0xf1ff
	v_cndmask_b32_e64 v19, 0, 1, s0
	v_cmp_gt_i32_e64 s0, 31, v25
	v_lshrrev_b32_e32 v0, 2, v0
	v_cmp_eq_u32_e64 s1, 3, v23
	s_delay_alu instid0(VALU_DEP_4)
	v_lshl_or_b32 v24, v19, 9, 0x7c00
	s_wait_alu 0xf1ff
	v_cndmask_b32_e64 v11, 0x7c00, v11, s0
	v_cmp_lt_i32_e64 s0, 5, v23
	v_and_or_b32 v20, 0x1ff, v21, v20
	s_wait_dscnt 0x0
	v_lshrrev_b32_e32 v27, 16, v6
	v_lshrrev_b32_e32 v25, 8, v21
	v_cndmask_b32_e64 v11, v11, v24, s2
	s_or_b32 s0, s1, s0
	v_bfe_u32 v28, v21, 20, 11
	s_wait_alu 0xfffe
	v_add_co_ci_u32_e64 v0, s0, 0, v0, s0
	v_cmp_ne_u32_e64 s0, 0, v20
	v_mul_f16_e32 v24, v33, v27
	v_mov_b32_e32 v19, v22
	v_mul_f64_e32 v[22:23], s[10:11], v[4:5]
	v_sub_nc_u32_e32 v29, 0x3f1, v28
	s_wait_alu 0xf1ff
	v_cndmask_b32_e64 v20, 0, 1, s0
	v_fmac_f16_e64 v24, v145, v6
	v_cmp_ne_u32_e64 s0, 0, v2
	v_and_or_b32 v11, 0x8000, v1, v11
	v_med3_i32 v29, v29, 0, 13
	v_and_or_b32 v20, 0xffe, v25, v20
	v_cvt_f32_f16_e32 v4, v24
	v_mad_co_u64_u32 v[24:25], null, s4, v142, 0
	s_wait_alu 0xf1ff
	v_cndmask_b32_e64 v2, 0, 1, s0
	v_or_b32_e32 v30, 0x1000, v20
	v_cvt_f64_f32_e32 v[4:5], v4
	v_cmp_gt_i32_e64 s0, 31, v26
	v_lshrrev_b32_e32 v21, 16, v21
	v_lshl_or_b32 v2, v2, 9, 0x7c00
	v_lshrrev_b32_e32 v32, v29, v30
	s_wait_alu 0xf1ff
	v_cndmask_b32_e64 v31, 0x7c00, v0, s0
	v_mov_b32_e32 v0, v25
	v_cmp_eq_u32_e64 s0, 0x40f, v26
	v_lshlrev_b32_e32 v25, v29, v32
	v_add_nc_u32_e32 v26, 0xfffffc10, v28
	s_delay_alu instid0(VALU_DEP_4) | instskip(SKIP_4) | instid1(VALU_DEP_3)
	v_mad_co_u64_u32 v[0:1], null, s5, v142, v[0:1]
	s_wait_alu 0xf1ff
	v_cndmask_b32_e64 v2, v31, v2, s0
	v_cmp_ne_u32_e64 s0, v25, v30
	v_mul_f16_e32 v1, v33, v6
	v_and_or_b32 v2, 0x8000, v3, v2
	s_wait_alu 0xf1ff
	s_delay_alu instid0(VALU_DEP_3) | instskip(SKIP_3) | instid1(VALU_DEP_4)
	v_cndmask_b32_e64 v6, 0, 1, s0
	v_cmp_gt_i32_e64 s0, 1, v26
	v_fma_f16 v1, v145, v27, -v1
	v_dual_mov_b32 v25, v0 :: v_dual_and_b32 v0, 0xffff, v11
	v_or_b32_e32 v3, v32, v6
	v_lshl_or_b32 v6, v26, 12, v20
	s_delay_alu instid0(VALU_DEP_4)
	v_cvt_f32_f16_e32 v11, v1
	v_lshrrev_b32_e32 v28, 8, v23
	v_bfe_u32 v29, v23, 20, 11
	s_wait_alu 0xf1ff
	v_cndmask_b32_e64 v27, v6, v3, s0
	v_and_or_b32 v6, 0x1ff, v23, v22
	v_lshl_or_b32 v22, v2, 16, v0
	v_lshlrev_b64_e32 v[0:1], 2, v[18:19]
	v_cvt_f64_f32_e32 v[2:3], v11
	v_and_b32_e32 v11, 7, v27
	v_cmp_ne_u32_e64 s0, 0, v6
	v_mul_f64_e32 v[18:19], s[10:11], v[4:5]
	v_sub_nc_u32_e32 v31, 0x3f1, v29
	v_lshrrev_b32_e32 v23, 16, v23
	v_cmp_eq_u32_e64 s1, 3, v11
	s_wait_alu 0xf1ff
	v_cndmask_b32_e64 v6, 0, 1, s0
	v_add_co_u32 v4, s0, s8, v0
	s_wait_alu 0xf1ff
	v_add_co_ci_u32_e64 v30, s0, s9, v1, s0
	v_cmp_lt_i32_e64 s0, 5, v11
	v_and_or_b32 v28, 0xffe, v28, v6
	v_lshrrev_b32_e32 v11, 2, v27
	ds_load_2addr_b32 v[5:6], v17 offset0:163 offset1:253
	v_lshlrev_b64_e32 v[0:1], 2, v[24:25]
	s_or_b32 s0, s1, s0
	v_or_b32_e32 v17, 0x1000, v28
	v_med3_i32 v24, v31, 0, 13
	s_wait_alu 0xfffe
	v_add_co_ci_u32_e64 v11, s0, 0, v11, s0
	v_cmp_ne_u32_e64 s0, 0, v20
	v_add_nc_u32_e32 v27, 0xfffffc10, v29
	v_lshrrev_b32_e32 v25, v24, v17
	v_lshrrev_b32_e32 v31, 16, v143
	s_wait_alu 0xf1ff
	v_cndmask_b32_e64 v20, 0, 1, s0
	v_add_co_u32 v0, s0, v4, v0
	s_wait_alu 0xf1ff
	v_add_co_ci_u32_e64 v1, s0, v30, v1, s0
	v_lshlrev_b32_e32 v4, v24, v25
	v_cmp_gt_i32_e64 s0, 31, v26
	v_lshl_or_b32 v20, v20, 9, 0x7c00
	s_wait_dscnt 0x0
	v_lshrrev_b32_e32 v24, 16, v5
	global_store_b32 v[0:1], v22, off
	s_wait_alu 0xf1ff
	v_cndmask_b32_e64 v11, 0x7c00, v11, s0
	v_cmp_ne_u32_e64 s0, v4, v17
	v_mul_f64_e32 v[3:4], s[10:11], v[2:3]
	v_mul_f16_e32 v2, v31, v24
	v_and_or_b32 v18, 0x1ff, v19, v18
	v_bfe_u32 v29, v19, 20, 11
	s_wait_alu 0xf1ff
	v_cndmask_b32_e64 v17, 0, 1, s0
	v_cmp_eq_u32_e64 s0, 0x40f, v26
	v_fmac_f16_e64 v2, v143, v5
	v_lshrrev_b32_e32 v26, 8, v19
	v_mul_f16_e32 v5, v31, v5
	v_or_b32_e32 v17, v25, v17
	s_wait_alu 0xf1ff
	v_cndmask_b32_e64 v11, v11, v20, s0
	v_lshl_or_b32 v20, v27, 12, v28
	v_cmp_gt_i32_e64 s0, 1, v27
	v_cvt_f32_f16_e32 v2, v2
	v_fma_f16 v5, v143, v24, -v5
	v_and_or_b32 v11, 0x8000, v21, v11
	v_lshrrev_b32_e32 v31, 16, v138
	s_wait_alu 0xf1ff
	v_cndmask_b32_e64 v20, v20, v17, s0
	v_cmp_ne_u32_e64 s0, 0, v18
	v_cvt_f64_f32_e32 v[17:18], v2
	v_sub_nc_u32_e32 v2, 0x3f1, v29
	v_cvt_f32_f16_e32 v5, v5
	v_and_b32_e32 v30, 7, v20
	s_wait_alu 0xf1ff
	v_cndmask_b32_e64 v25, 0, 1, s0
	v_lshrrev_b32_e32 v20, 2, v20
	v_med3_i32 v2, v2, 0, 13
	v_and_b32_e32 v11, 0xffff, v11
	v_cmp_lt_i32_e64 s0, 5, v30
	v_cmp_eq_u32_e64 s1, 3, v30
	v_and_or_b32 v25, 0xffe, v26, v25
	v_lshrrev_b32_e32 v19, 16, v19
	s_delay_alu instid0(VALU_DEP_3) | instskip(NEXT) | instid1(VALU_DEP_2)
	s_or_b32 s0, s1, s0
	v_or_b32_e32 v21, 0x1000, v25
	s_wait_alu 0xfffe
	v_add_co_ci_u32_e64 v20, s0, 0, v20, s0
	v_cmp_ne_u32_e64 s0, 0, v28
	v_and_or_b32 v3, 0x1ff, v4, v3
	v_lshrrev_b32_e32 v28, v2, v21
	s_wait_alu 0xf1ff
	s_delay_alu instid0(VALU_DEP_3) | instskip(SKIP_1) | instid1(VALU_DEP_3)
	v_cndmask_b32_e64 v26, 0, 1, s0
	v_cmp_gt_i32_e64 s0, 31, v27
	v_lshlrev_b32_e32 v2, v2, v28
	s_delay_alu instid0(VALU_DEP_3) | instskip(SKIP_1) | instid1(VALU_DEP_3)
	v_lshl_or_b32 v24, v26, 9, 0x7c00
	s_wait_alu 0xf1ff
	v_cndmask_b32_e64 v20, 0x7c00, v20, s0
	v_cmp_eq_u32_e64 s0, 0x40f, v27
	v_bfe_u32 v26, v4, 20, 11
	v_add_nc_u32_e32 v27, 0xfffffc10, v29
	s_wait_alu 0xf1ff
	s_delay_alu instid0(VALU_DEP_3)
	v_cndmask_b32_e64 v24, v20, v24, s0
	v_cmp_ne_u32_e64 s0, v2, v21
	v_cvt_f64_f32_e32 v[20:21], v5
	v_lshrrev_b32_e32 v5, 8, v4
	v_sub_nc_u32_e32 v29, 0x3f1, v26
	v_lshl_or_b32 v30, v27, 12, v25
	s_wait_alu 0xf1ff
	v_cndmask_b32_e64 v2, 0, 1, s0
	v_cmp_ne_u32_e64 s0, 0, v3
	v_mul_f64_e32 v[17:18], s[10:11], v[17:18]
	v_med3_i32 v29, v29, 0, 13
	v_and_or_b32 v23, 0x8000, v23, v24
	v_or_b32_e32 v28, v28, v2
	s_wait_alu 0xf1ff
	v_cndmask_b32_e64 v3, 0, 1, s0
	v_cmp_gt_i32_e64 s0, 1, v27
	v_add_nc_u32_e32 v26, 0xfffffc10, v26
	v_lshl_or_b32 v11, v23, 16, v11
	s_delay_alu instid0(VALU_DEP_4)
	v_and_or_b32 v5, 0xffe, v5, v3
	ds_load_2addr_b32 v[2:3], v9 offset0:132 offset1:222
	s_wait_alu 0xf1ff
	v_cndmask_b32_e64 v28, v30, v28, s0
	s_mul_u64 s[0:1], s[4:5], 0xe1
	v_or_b32_e32 v9, 0x1000, v5
	s_wait_alu 0xfffe
	s_lshl_b64 s[6:7], s[0:1], 2
	v_and_b32_e32 v22, 7, v28
	s_delay_alu instid0(VALU_DEP_2) | instskip(NEXT) | instid1(VALU_DEP_2)
	v_lshrrev_b32_e32 v24, v29, v9
	v_cmp_lt_i32_e64 s0, 5, v22
	v_cmp_eq_u32_e64 s1, 3, v22
	v_lshrrev_b32_e32 v22, 2, v28
	s_delay_alu instid0(VALU_DEP_4) | instskip(NEXT) | instid1(VALU_DEP_3)
	v_lshlrev_b32_e32 v23, v29, v24
	s_or_b32 s0, s1, s0
	s_delay_alu instid0(VALU_DEP_1)
	v_cmp_ne_u32_e64 s2, v23, v9
	s_wait_alu 0xfffe
	v_add_co_ci_u32_e64 v22, s0, 0, v22, s0
	s_wait_dscnt 0x0
	v_lshrrev_b32_e32 v28, 16, v2
	v_cmp_ne_u32_e64 s0, 0, v25
	s_wait_alu 0xf1ff
	v_cndmask_b32_e64 v9, 0, 1, s2
	v_mul_f64_e32 v[20:21], s[10:11], v[20:21]
	v_mul_f16_e32 v23, v31, v28
	v_cndmask_b32_e64 v25, 0, 1, s0
	s_delay_alu instid0(VALU_DEP_4)
	v_or_b32_e32 v9, v24, v9
	v_lshl_or_b32 v24, v26, 12, v5
	v_cmp_gt_i32_e64 s0, 1, v26
	v_fmac_f16_e64 v23, v138, v2
	v_and_or_b32 v17, 0x1ff, v18, v17
	v_bfe_u32 v29, v18, 20, 11
	v_mul_f16_e32 v2, v31, v2
	s_wait_alu 0xf1ff
	v_cndmask_b32_e64 v9, v24, v9, s0
	v_cmp_gt_i32_e64 s0, 31, v27
	v_lshl_or_b32 v24, v25, 9, 0x7c00
	v_cvt_f32_f16_e32 v23, v23
	v_cmp_ne_u32_e64 s1, 0, v17
	v_and_b32_e32 v25, 7, v9
	s_wait_alu 0xf1ff
	v_cndmask_b32_e64 v22, 0x7c00, v22, s0
	v_cmp_eq_u32_e64 s0, 0x40f, v27
	v_lshrrev_b32_e32 v9, 2, v9
	v_cndmask_b32_e64 v17, 0, 1, s1
	v_cmp_eq_u32_e64 s1, 3, v25
	v_lshrrev_b32_e32 v27, 8, v18
	s_wait_alu 0xf1ff
	v_cndmask_b32_e64 v24, v22, v24, s0
	v_cvt_f64_f32_e32 v[22:23], v23
	v_cmp_lt_i32_e64 s0, 5, v25
	v_sub_nc_u32_e32 v25, 0x3f1, v29
	v_and_or_b32 v17, 0xffe, v27, v17
	v_and_or_b32 v24, 0x8000, v19, v24
	v_fma_f16 v2, v138, v28, -v2
	s_or_b32 s0, s1, s0
	v_med3_i32 v25, v25, 0, 13
	s_wait_alu 0xfffe
	v_add_co_ci_u32_e64 v9, s0, 0, v9, s0
	v_cmp_ne_u32_e64 s0, 0, v5
	v_or_b32_e32 v27, 0x1000, v17
	v_cvt_f32_f16_e32 v2, v2
	v_and_b32_e32 v24, 0xffff, v24
	v_and_or_b32 v19, 0x1ff, v21, v20
	s_wait_alu 0xf1ff
	v_cndmask_b32_e64 v5, 0, 1, s0
	v_cmp_gt_i32_e64 s0, 31, v26
	v_lshrrev_b32_e32 v30, v25, v27
	v_cmp_ne_u32_e64 s2, 0, v17
	v_lshrrev_b32_e32 v18, 16, v18
	v_lshl_or_b32 v5, v5, 9, 0x7c00
	s_wait_alu 0xf1ff
	v_cndmask_b32_e64 v9, 0x7c00, v9, s0
	v_cmp_eq_u32_e64 s0, 0x40f, v26
	v_lshrrev_b32_e32 v26, 16, v4
	v_lshlrev_b32_e32 v4, v25, v30
	v_bfe_u32 v25, v21, 20, 11
	s_wait_alu 0xf1ff
	v_cndmask_b32_e64 v9, v9, v5, s0
	v_cmp_ne_u32_e64 s0, 0, v19
	v_lshrrev_b32_e32 v19, 8, v21
	v_lshrrev_b32_e32 v21, 16, v21
	s_wait_alu 0xf1ff
	s_delay_alu instid0(VALU_DEP_3) | instskip(SKIP_2) | instid1(VALU_DEP_3)
	v_cndmask_b32_e64 v5, 0, 1, s0
	v_cmp_ne_u32_e64 s0, v4, v27
	v_add_nc_u32_e32 v27, 0xfffffc10, v29
	v_and_or_b32 v28, 0xffe, v19, v5
	s_wait_alu 0xf1ff
	s_delay_alu instid0(VALU_DEP_3)
	v_cndmask_b32_e64 v4, 0, 1, s0
	v_mul_f64_e32 v[19:20], s[10:11], v[22:23]
	v_sub_nc_u32_e32 v22, 0x3f1, v25
	v_lshl_or_b32 v29, v27, 12, v17
	v_cmp_gt_i32_e64 s0, 1, v27
	v_or_b32_e32 v23, v30, v4
	v_or_b32_e32 v30, 0x1000, v28
	v_cvt_f64_f32_e32 v[4:5], v2
	v_med3_i32 v2, v22, 0, 13
	v_and_or_b32 v22, 0x8000, v26, v9
	s_wait_alu 0xf1ff
	v_cndmask_b32_e64 v26, v29, v23, s0
	v_add_co_u32 v0, s0, v0, s6
	v_lshrrev_b32_e32 v29, v2, v30
	s_wait_alu 0xf1ff
	v_add_co_ci_u32_e64 v1, s0, s7, v1, s0
	v_lshl_or_b32 v31, v22, 16, v24
	v_add_co_u32 v22, s0, v0, s6
	v_lshlrev_b32_e32 v2, v2, v29
	ds_load_2addr_b32 v[8:9], v8 offset0:101 offset1:191
	s_wait_alu 0xf1ff
	v_add_co_ci_u32_e64 v23, s0, s7, v1, s0
	v_and_b32_e32 v24, 7, v26
	v_cmp_ne_u32_e64 s0, v2, v30
	v_add_nc_u32_e32 v30, 0xfffffc10, v25
	v_cndmask_b32_e64 v17, 0, 1, s2
	s_delay_alu instid0(VALU_DEP_4)
	v_cmp_eq_u32_e64 s1, 3, v24
	s_wait_alu 0xf1ff
	v_cndmask_b32_e64 v2, 0, 1, s0
	v_cmp_lt_i32_e64 s0, 5, v24
	v_lshrrev_b32_e32 v24, 2, v26
	v_lshl_or_b32 v25, v30, 12, v28
	v_lshl_or_b32 v17, v17, 9, 0x7c00
	v_or_b32_e32 v2, v29, v2
	s_or_b32 s0, s1, s0
	s_wait_alu 0xfffe
	v_add_co_ci_u32_e64 v24, s0, 0, v24, s0
	v_cmp_gt_i32_e64 s0, 1, v30
	s_wait_dscnt 0x0
	v_lshrrev_b32_e32 v26, 16, v8
	v_and_or_b32 v19, 0x1ff, v20, v19
	s_wait_alu 0xf1ff
	v_cndmask_b32_e64 v2, v25, v2, s0
	v_cmp_gt_i32_e64 s0, 31, v27
	v_mul_f16_e32 v29, v36, v26
	s_delay_alu instid0(VALU_DEP_3) | instskip(SKIP_1) | instid1(VALU_DEP_3)
	v_and_b32_e32 v33, 7, v2
	s_wait_alu 0xf1ff
	v_cndmask_b32_e64 v32, 0x7c00, v24, s0
	v_mul_f64_e32 v[24:25], s[10:11], v[4:5]
	v_fmac_f16_e64 v29, v140, v8
	v_cmp_ne_u32_e64 s0, 0, v19
	v_lshrrev_b32_e32 v5, 8, v20
	v_cmp_eq_u32_e64 s1, 3, v33
	v_lshrrev_b32_e32 v2, 2, v2
	v_cvt_f32_f16_e32 v29, v29
	s_wait_alu 0xf1ff
	v_cndmask_b32_e64 v4, 0, 1, s0
	v_cmp_lt_i32_e64 s0, 5, v33
	v_bfe_u32 v19, v20, 20, 11
	v_mul_f16_e32 v8, v36, v8
	v_lshrrev_b32_e32 v20, 16, v20
	v_and_or_b32 v33, 0xffe, v5, v4
	v_cvt_f64_f32_e32 v[4:5], v29
	s_or_b32 s0, s1, s0
	v_sub_nc_u32_e32 v34, 0x3f1, v19
	s_wait_alu 0xfffe
	v_add_co_ci_u32_e64 v2, s0, 0, v2, s0
	v_cmp_ne_u32_e64 s0, 0, v28
	v_or_b32_e32 v29, 0x1000, v33
	v_med3_i32 v34, v34, 0, 13
	v_fma_f16 v8, v140, v26, -v8
	v_add_nc_u32_e32 v19, 0xfffffc10, v19
	s_wait_alu 0xf1ff
	v_cndmask_b32_e64 v28, 0, 1, s0
	v_cmp_gt_i32_e64 s0, 31, v30
	v_lshrrev_b32_e32 v35, v34, v29
	v_cvt_f32_f16_e32 v8, v8
	s_delay_alu instid0(VALU_DEP_4)
	v_lshl_or_b32 v28, v28, 9, 0x7c00
	s_wait_alu 0xf1ff
	v_cndmask_b32_e64 v2, 0x7c00, v2, s0
	v_cmp_eq_u32_e64 s0, 0x40f, v27
	v_lshlrev_b32_e32 v27, v34, v35
	s_wait_alu 0xf1ff
	s_delay_alu instid0(VALU_DEP_2)
	v_cndmask_b32_e64 v17, v32, v17, s0
	v_cmp_eq_u32_e64 s0, 0x40f, v30
	v_lshrrev_b32_e32 v32, 16, v137
	v_lshrrev_b32_e32 v26, 8, v25
	v_bfe_u32 v30, v25, 20, 11
	s_wait_alu 0xf1ff
	v_cndmask_b32_e64 v2, v2, v28, s0
	v_cmp_ne_u32_e64 s0, v27, v29
	v_and_or_b32 v28, 0x8000, v18, v17
	v_and_or_b32 v17, 0x1ff, v25, v24
	v_lshl_or_b32 v29, v19, 12, v33
	v_and_or_b32 v2, 0x8000, v21, v2
	s_wait_alu 0xf1ff
	v_cndmask_b32_e64 v27, 0, 1, s0
	v_lshrrev_b32_e32 v25, 16, v25
	v_cmp_ne_u32_e64 s0, 0, v17
	v_mul_f64_e32 v[17:18], s[10:11], v[4:5]
	s_delay_alu instid0(VALU_DEP_4)
	v_or_b32_e32 v21, v35, v27
	ds_load_2addr_b32 v[4:5], v16 offset0:70 offset1:160
	s_wait_alu 0xf1ff
	v_cndmask_b32_e64 v24, 0, 1, s0
	v_sub_nc_u32_e32 v16, 0x3f1, v30
	v_cmp_gt_i32_e64 s0, 1, v19
	s_clause 0x1
	global_store_b32 v[0:1], v11, off
	global_store_b32 v[22:23], v31, off
	v_and_or_b32 v24, 0xffe, v26, v24
	v_cvt_f64_f32_e32 v[26:27], v8
	v_and_b32_e32 v8, 0xffff, v28
	s_wait_alu 0xf1ff
	v_cndmask_b32_e64 v28, v29, v21, s0
	v_med3_i32 v16, v16, 0, 13
	v_or_b32_e32 v29, 0x1000, v24
	v_add_co_u32 v21, s0, v22, s6
	s_delay_alu instid0(VALU_DEP_4) | instskip(SKIP_1) | instid1(VALU_DEP_4)
	v_and_b32_e32 v0, 7, v28
	v_lshl_or_b32 v8, v2, 16, v8
	v_lshrrev_b32_e32 v1, v16, v29
	s_wait_alu 0xf1ff
	v_add_co_ci_u32_e64 v22, s0, s7, v23, s0
	v_cmp_lt_i32_e64 s0, 5, v0
	v_cmp_eq_u32_e64 s1, 3, v0
	v_lshlrev_b32_e32 v2, v16, v1
	s_wait_dscnt 0x0
	v_lshrrev_b32_e32 v11, 16, v4
	v_lshrrev_b32_e32 v0, 2, v28
	v_add_nc_u32_e32 v23, 0xfffffc10, v30
	s_or_b32 s0, s1, s0
	v_cmp_ne_u32_e64 s2, v2, v29
	v_mul_f16_e32 v16, v32, v11
	s_wait_alu 0xfffe
	v_add_co_ci_u32_e64 v0, s0, 0, v0, s0
	v_cmp_gt_i32_e64 s0, 31, v19
	s_wait_alu 0xf1ff
	v_cndmask_b32_e64 v2, 0, 1, s2
	v_fmac_f16_e64 v16, v137, v4
	v_cmp_eq_u32_e64 s2, 0x40f, v19
	v_mul_f16_e32 v4, v32, v4
	v_cndmask_b32_e64 v28, 0x7c00, v0, s0
	v_or_b32_e32 v1, v1, v2
	v_lshl_or_b32 v2, v23, 12, v24
	v_cmp_gt_i32_e64 s0, 1, v23
	v_and_or_b32 v29, 0x1ff, v18, v17
	v_cvt_f32_f16_e32 v0, v16
	v_bfe_u32 v31, v18, 20, 11
	v_fma_f16 v4, v137, v11, -v4
	s_wait_alu 0xf1ff
	v_cndmask_b32_e64 v2, v2, v1, s0
	v_cmp_ne_u32_e64 s0, 0, v33
	v_mul_f64_e32 v[16:17], s[10:11], v[26:27]
	v_cvt_f64_f32_e32 v[0:1], v0
	v_cvt_f32_f16_e32 v4, v4
	v_and_b32_e32 v26, 7, v2
	s_wait_alu 0xf1ff
	v_cndmask_b32_e64 v30, 0, 1, s0
	v_cmp_ne_u32_e64 s0, 0, v29
	v_lshrrev_b32_e32 v29, 8, v18
	v_lshrrev_b32_e32 v2, 2, v2
	v_cmp_eq_u32_e64 s1, 3, v26
	v_lshl_or_b32 v30, v30, 9, 0x7c00
	s_wait_alu 0xf1ff
	v_cndmask_b32_e64 v27, 0, 1, s0
	v_cmp_lt_i32_e64 s0, 5, v26
	global_store_b32 v[21:22], v8, off
	v_lshrrev_b32_e32 v32, 16, v135
	v_cndmask_b32_e64 v19, v28, v30, s2
	v_and_or_b32 v26, 0xffe, v29, v27
	v_sub_nc_u32_e32 v27, 0x3f1, v31
	s_or_b32 s0, s1, s0
	v_lshrrev_b32_e32 v18, 16, v18
	s_wait_alu 0xfffe
	v_add_co_ci_u32_e64 v2, s0, 0, v2, s0
	v_or_b32_e32 v28, 0x1000, v26
	v_med3_i32 v27, v27, 0, 13
	v_cmp_ne_u32_e64 s0, 0, v24
	v_and_or_b32 v30, 0x8000, v20, v19
	v_lshrrev_b32_e32 v33, 16, v132
	s_delay_alu instid0(VALU_DEP_4) | instskip(SKIP_3) | instid1(VALU_DEP_3)
	v_lshrrev_b32_e32 v29, v27, v28
	s_wait_alu 0xf1ff
	v_cndmask_b32_e64 v24, 0, 1, s0
	v_cmp_gt_i32_e64 s0, 31, v23
	v_lshlrev_b32_e32 v27, v27, v29
	s_delay_alu instid0(VALU_DEP_3) | instskip(SKIP_1) | instid1(VALU_DEP_3)
	v_lshl_or_b32 v24, v24, 9, 0x7c00
	s_wait_alu 0xf1ff
	v_cndmask_b32_e64 v2, 0x7c00, v2, s0
	v_cmp_eq_u32_e64 s0, 0x40f, v23
	v_and_or_b32 v16, 0x1ff, v17, v16
	v_mul_f64_e32 v[19:20], s[10:11], v[0:1]
	s_wait_alu 0xf1ff
	s_delay_alu instid0(VALU_DEP_3)
	v_cndmask_b32_e64 v2, v2, v24, s0
	v_cmp_ne_u32_e64 s0, v27, v28
	v_add_nc_u32_e32 v27, 0xfffffc10, v31
	v_cvt_f64_f32_e32 v[23:24], v4
	v_lshrrev_b32_e32 v1, 8, v17
	v_and_or_b32 v4, 0x8000, v25, v2
	s_wait_alu 0xf1ff
	v_cndmask_b32_e64 v11, 0, 1, s0
	v_cmp_ne_u32_e64 s0, 0, v16
	v_lshl_or_b32 v28, v27, 12, v26
	v_bfe_u32 v25, v17, 20, 11
	v_and_b32_e32 v16, 0xffff, v30
	v_or_b32_e32 v11, v29, v11
	s_wait_alu 0xf1ff
	v_cndmask_b32_e64 v0, 0, 1, s0
	v_cmp_gt_i32_e64 s0, 1, v27
	v_lshrrev_b32_e32 v17, 16, v17
	v_lshl_or_b32 v4, v4, 16, v16
	s_delay_alu instid0(VALU_DEP_4)
	v_and_or_b32 v0, 0xffe, v1, v0
	s_wait_alu 0xf1ff
	v_cndmask_b32_e64 v11, v28, v11, s0
	ds_load_2addr_b32 v[1:2], v15 offset0:39 offset1:129
	v_sub_nc_u32_e32 v15, 0x3f1, v25
	v_add_nc_u32_e32 v25, 0xfffffc10, v25
	v_or_b32_e32 v8, 0x1000, v0
	v_and_b32_e32 v28, 7, v11
	v_lshrrev_b32_e32 v11, 2, v11
	v_med3_i32 v29, v15, 0, 13
	v_add_co_u32 v15, s2, v21, s6
	s_delay_alu instid0(VALU_DEP_4) | instskip(SKIP_1) | instid1(VALU_DEP_4)
	v_cmp_lt_i32_e64 s0, 5, v28
	v_cmp_eq_u32_e64 s1, 3, v28
	v_lshrrev_b32_e32 v28, v29, v8
	s_wait_alu 0xf1ff
	v_add_co_ci_u32_e64 v16, s2, s7, v22, s2
	v_cmp_eq_u32_e64 s2, 0x40f, v27
	s_or_b32 s0, s1, s0
	v_lshlrev_b32_e32 v21, v29, v28
	s_wait_alu 0xfffe
	v_add_co_ci_u32_e64 v11, s0, 0, v11, s0
	v_and_or_b32 v19, 0x1ff, v20, v19
	s_wait_dscnt 0x0
	v_lshrrev_b32_e32 v29, 16, v1
	v_cmp_ne_u32_e64 s0, v21, v8
	v_mul_f64_e32 v[21:22], s[10:11], v[23:24]
	global_store_b32 v[15:16], v4, off
	v_mul_f16_e32 v30, v32, v29
	s_wait_alu 0xf1ff
	v_cndmask_b32_e64 v8, 0, 1, s0
	v_cmp_gt_i32_e64 s0, 31, v27
	s_delay_alu instid0(VALU_DEP_3) | instskip(NEXT) | instid1(VALU_DEP_3)
	v_fmac_f16_e64 v30, v135, v1
	v_or_b32_e32 v8, v28, v8
	s_wait_alu 0xf1ff
	s_delay_alu instid0(VALU_DEP_3)
	v_cndmask_b32_e64 v11, 0x7c00, v11, s0
	v_lshl_or_b32 v28, v25, 12, v0
	v_cmp_gt_i32_e64 s0, 1, v25
	v_cvt_f32_f16_e32 v23, v30
	v_bfe_u32 v30, v20, 20, 11
	v_mul_f16_e32 v1, v32, v1
	v_lshrrev_b32_e32 v32, 16, v131
	s_wait_alu 0xf1ff
	v_cndmask_b32_e64 v8, v28, v8, s0
	v_cmp_ne_u32_e64 s0, 0, v19
	v_lshrrev_b32_e32 v28, 8, v20
	v_cvt_f64_f32_e32 v[23:24], v23
	v_fma_f16 v1, v135, v29, -v1
	v_and_b32_e32 v31, 7, v8
	s_wait_alu 0xf1ff
	v_cndmask_b32_e64 v19, 0, 1, s0
	v_cmp_ne_u32_e64 s0, 0, v26
	v_lshrrev_b32_e32 v8, 2, v8
	v_add_nc_u32_e32 v27, 0xfffffc10, v30
	v_cmp_eq_u32_e64 s1, 3, v31
	v_and_or_b32 v28, 0xffe, v28, v19
	s_wait_alu 0xf1ff
	v_cndmask_b32_e64 v26, 0, 1, s0
	v_sub_nc_u32_e32 v19, 0x3f1, v30
	v_cmp_lt_i32_e64 s0, 5, v31
	v_lshrrev_b32_e32 v20, 16, v20
	v_or_b32_e32 v31, 0x1000, v28
	v_lshl_or_b32 v26, v26, 9, 0x7c00
	v_med3_i32 v19, v19, 0, 13
	s_or_b32 s0, s1, s0
	s_wait_alu 0xfffe
	v_add_co_ci_u32_e64 v8, s0, 0, v8, s0
	v_cndmask_b32_e64 v11, v11, v26, s2
	v_lshrrev_b32_e32 v26, v19, v31
	v_cmp_ne_u32_e64 s0, 0, v0
	s_delay_alu instid0(VALU_DEP_3) | instskip(NEXT) | instid1(VALU_DEP_3)
	v_and_or_b32 v11, 0x8000, v18, v11
	v_lshlrev_b32_e32 v18, v19, v26
	s_wait_alu 0xf1ff
	s_delay_alu instid0(VALU_DEP_3) | instskip(SKIP_3) | instid1(VALU_DEP_4)
	v_cndmask_b32_e64 v0, 0, 1, s0
	v_cmp_gt_i32_e64 s0, 31, v25
	v_and_or_b32 v19, 0x1ff, v22, v21
	v_and_b32_e32 v11, 0xffff, v11
	v_lshl_or_b32 v0, v0, 9, 0x7c00
	s_wait_alu 0xf1ff
	v_cndmask_b32_e64 v8, 0x7c00, v8, s0
	v_cmp_ne_u32_e64 s0, v18, v31
	s_wait_alu 0xf1ff
	s_delay_alu instid0(VALU_DEP_1) | instskip(SKIP_2) | instid1(VALU_DEP_3)
	v_cndmask_b32_e64 v18, 0, 1, s0
	v_cmp_eq_u32_e64 s0, 0x40f, v25
	v_lshl_or_b32 v25, v27, 12, v28
	v_or_b32_e32 v21, v26, v18
	v_cvt_f32_f16_e32 v26, v1
	s_wait_alu 0xf1ff
	v_cndmask_b32_e64 v8, v8, v0, s0
	v_cmp_ne_u32_e64 s0, 0, v19
	ds_load_2addr_b32 v[0:1], v14 offset0:8 offset1:98
	v_mul_f64_e32 v[18:19], s[10:11], v[23:24]
	v_cvt_f64_f32_e32 v[23:24], v26
	v_lshrrev_b32_e32 v14, 8, v22
	s_wait_alu 0xf1ff
	v_cndmask_b32_e64 v29, 0, 1, s0
	v_bfe_u32 v26, v22, 20, 11
	v_cmp_gt_i32_e64 s0, 1, v27
	v_and_or_b32 v8, 0x8000, v17, v8
	v_lshrrev_b32_e32 v22, 16, v22
	s_wait_alu 0xf1ff
	s_delay_alu instid0(VALU_DEP_3)
	v_cndmask_b32_e64 v21, v25, v21, s0
	v_and_or_b32 v25, 0xffe, v14, v29
	v_sub_nc_u32_e32 v14, 0x3f1, v26
	v_lshl_or_b32 v4, v8, 16, v11
	v_add_nc_u32_e32 v26, 0xfffffc10, v26
	v_and_b32_e32 v17, 7, v21
	v_or_b32_e32 v29, 0x1000, v25
	v_med3_i32 v30, v14, 0, 13
	v_add_co_u32 v14, s2, v15, s6
	s_wait_dscnt 0x0
	v_lshrrev_b32_e32 v11, 16, v0
	v_cmp_lt_i32_e64 s0, 5, v17
	v_lshrrev_b32_e32 v8, v30, v29
	v_cmp_eq_u32_e64 s1, 3, v17
	s_wait_alu 0xf1ff
	v_add_co_ci_u32_e64 v15, s2, s7, v16, s2
	v_lshrrev_b32_e32 v16, 2, v21
	v_mul_f16_e32 v17, v32, v11
	v_lshlrev_b32_e32 v21, v30, v8
	s_or_b32 s0, s1, s0
	global_store_b32 v[14:15], v4, off
	s_wait_alu 0xfffe
	v_add_co_ci_u32_e64 v30, s0, 0, v16, s0
	v_fmac_f16_e64 v17, v131, v0
	v_cmp_ne_u32_e64 s0, v21, v29
	v_lshl_or_b32 v29, v26, 12, v25
	v_mul_f16_e32 v0, v32, v0
	v_add_co_u32 v14, s2, v14, s6
	s_wait_alu 0xf1ff
	v_cndmask_b32_e64 v16, 0, 1, s0
	v_cmp_ne_u32_e64 s0, 0, v28
	v_cvt_f32_f16_e32 v28, v17
	v_and_or_b32 v18, 0x1ff, v19, v18
	v_fma_f16 v0, v131, v11, -v0
	v_or_b32_e32 v8, v8, v16
	s_wait_alu 0xf1ff
	v_cndmask_b32_e64 v21, 0, 1, s0
	v_mul_f64_e32 v[16:17], s[10:11], v[23:24]
	v_cvt_f64_f32_e32 v[23:24], v28
	v_cmp_gt_i32_e64 s0, 1, v26
	v_lshrrev_b32_e32 v28, 8, v19
	v_lshl_or_b32 v21, v21, 9, 0x7c00
	v_cvt_f32_f16_e32 v0, v0
	v_add_co_ci_u32_e64 v15, s2, s7, v15, s2
	s_wait_alu 0xf1ff
	v_cndmask_b32_e64 v8, v29, v8, s0
	v_cmp_ne_u32_e64 s0, 0, v18
	v_bfe_u32 v29, v19, 20, 11
	s_delay_alu instid0(VALU_DEP_3) | instskip(SKIP_1) | instid1(VALU_DEP_3)
	v_and_b32_e32 v31, 7, v8
	s_wait_alu 0xf1ff
	v_cndmask_b32_e64 v18, 0, 1, s0
	v_cmp_gt_i32_e64 s0, 31, v27
	v_lshrrev_b32_e32 v8, 2, v8
	v_cmp_eq_u32_e64 s1, 3, v31
	s_delay_alu instid0(VALU_DEP_4)
	v_and_or_b32 v18, 0xffe, v28, v18
	s_wait_alu 0xf1ff
	v_cndmask_b32_e64 v30, 0x7c00, v30, s0
	v_cmp_eq_u32_e64 s0, 0x40f, v27
	v_sub_nc_u32_e32 v28, 0x3f1, v29
	v_or_b32_e32 v27, 0x1000, v18
	s_wait_alu 0xf1ff
	s_delay_alu instid0(VALU_DEP_3) | instskip(SKIP_2) | instid1(VALU_DEP_3)
	v_cndmask_b32_e64 v21, v30, v21, s0
	v_cmp_lt_i32_e64 s0, 5, v31
	v_med3_i32 v28, v28, 0, 13
	v_and_or_b32 v30, 0x8000, v20, v21
	s_delay_alu instid0(VALU_DEP_3) | instskip(NEXT) | instid1(VALU_DEP_2)
	s_or_b32 s0, s1, s0
	v_lshrrev_b32_e32 v31, v28, v27
	s_wait_alu 0xfffe
	v_add_co_ci_u32_e64 v8, s0, 0, v8, s0
	v_cmp_ne_u32_e64 s0, 0, v25
	s_delay_alu instid0(VALU_DEP_3)
	v_lshlrev_b32_e32 v11, v28, v31
	v_and_or_b32 v16, 0x1ff, v17, v16
	v_bfe_u32 v28, v17, 20, 11
	s_wait_alu 0xf1ff
	v_cndmask_b32_e64 v20, 0, 1, s0
	v_cmp_gt_i32_e64 s0, 31, v26
	s_delay_alu instid0(VALU_DEP_2)
	v_lshl_or_b32 v25, v20, 9, 0x7c00
	v_mul_f64_e32 v[20:21], s[10:11], v[23:24]
	v_cvt_f64_f32_e32 v[23:24], v0
	s_wait_alu 0xf1ff
	v_cndmask_b32_e64 v8, 0x7c00, v8, s0
	v_cmp_ne_u32_e64 s0, v11, v27
	v_add_nc_u32_e32 v27, 0xfffffc10, v29
	s_wait_alu 0xf1ff
	s_delay_alu instid0(VALU_DEP_2) | instskip(SKIP_3) | instid1(VALU_DEP_2)
	v_cndmask_b32_e64 v11, 0, 1, s0
	v_cmp_eq_u32_e64 s0, 0x40f, v26
	v_lshrrev_b32_e32 v26, 8, v17
	s_wait_alu 0xf1ff
	v_cndmask_b32_e64 v0, v8, v25, s0
	v_cmp_ne_u32_e64 s0, 0, v16
	v_or_b32_e32 v8, v31, v11
	ds_load_2addr_b32 v[10:11], v10 offset0:105 offset1:195
	v_lshl_or_b32 v25, v27, 12, v18
	v_and_or_b32 v0, 0x8000, v22, v0
	s_wait_alu 0xf1ff
	v_cndmask_b32_e64 v16, 0, 1, s0
	v_cmp_gt_i32_e64 s0, 1, v27
	v_and_b32_e32 v22, 0xffff, v30
	s_delay_alu instid0(VALU_DEP_3) | instskip(SKIP_1) | instid1(VALU_DEP_3)
	v_and_or_b32 v16, 0xffe, v26, v16
	s_wait_alu 0xf1ff
	v_cndmask_b32_e64 v8, v25, v8, s0
	v_sub_nc_u32_e32 v25, 0x3f1, v28
	v_lshl_or_b32 v0, v0, 16, v22
	v_add_nc_u32_e32 v28, 0xfffffc10, v28
	v_or_b32_e32 v29, 0x1000, v16
	v_and_b32_e32 v26, 7, v8
	v_med3_i32 v25, v25, 0, 13
	v_lshrrev_b32_e32 v8, 2, v8
	v_lshl_or_b32 v31, v28, 12, v16
	global_store_b32 v[14:15], v0, off
	v_cmp_lt_i32_e64 s0, 5, v26
	v_lshrrev_b32_e32 v4, v25, v29
	v_cmp_eq_u32_e64 s1, 3, v26
	s_wait_dscnt 0x0
	v_lshrrev_b32_e32 v26, 16, v10
	v_mul_f64_e32 v[22:23], s[10:11], v[23:24]
	v_and_or_b32 v20, 0x1ff, v21, v20
	v_lshlrev_b32_e32 v25, v25, v4
	s_or_b32 s0, s1, s0
	v_mul_f16_e32 v30, v33, v26
	s_wait_alu 0xfffe
	v_add_co_ci_u32_e64 v8, s0, 0, v8, s0
	v_cmp_ne_u32_e64 s0, v25, v29
	v_lshrrev_b32_e32 v29, 8, v21
	v_fmac_f16_e64 v30, v132, v10
	v_mul_f16_e32 v10, v33, v10
	s_wait_alu 0xf1ff
	v_cndmask_b32_e64 v24, 0, 1, s0
	v_cmp_ne_u32_e64 s0, 0, v20
	v_cvt_f32_f16_e32 v25, v30
	v_bfe_u32 v30, v21, 20, 11
	v_fma_f16 v10, v132, v26, -v10
	v_or_b32_e32 v4, v4, v24
	s_wait_alu 0xf1ff
	v_cndmask_b32_e64 v20, 0, 1, s0
	v_cmp_ne_u32_e64 s0, 0, v18
	v_cvt_f64_f32_e32 v[24:25], v25
	v_cvt_f32_f16_e32 v10, v10
	v_lshrrev_b32_e32 v21, 16, v21
	v_and_or_b32 v20, 0xffe, v29, v20
	s_wait_alu 0xf1ff
	v_cndmask_b32_e64 v18, 0, 1, s0
	v_cmp_gt_i32_e64 s0, 1, v28
	v_sub_nc_u32_e32 v29, 0x3f1, v30
	s_delay_alu instid0(VALU_DEP_3) | instskip(SKIP_1) | instid1(VALU_DEP_3)
	v_lshl_or_b32 v18, v18, 9, 0x7c00
	s_wait_alu 0xf1ff
	v_cndmask_b32_e64 v4, v31, v4, s0
	v_cmp_gt_i32_e64 s0, 31, v27
	v_or_b32_e32 v31, 0x1000, v20
	v_med3_i32 v29, v29, 0, 13
	s_delay_alu instid0(VALU_DEP_4)
	v_and_b32_e32 v32, 7, v4
	s_wait_alu 0xf1ff
	v_cndmask_b32_e64 v8, 0x7c00, v8, s0
	v_cmp_eq_u32_e64 s0, 0x40f, v27
	v_lshrrev_b32_e32 v0, v29, v31
	v_lshrrev_b32_e32 v4, 2, v4
	v_cmp_eq_u32_e64 s1, 3, v32
	v_lshrrev_b32_e32 v27, 16, v19
	s_wait_alu 0xf1ff
	v_cndmask_b32_e64 v8, v8, v18, s0
	v_cmp_lt_i32_e64 s0, 5, v32
	v_lshlrev_b32_e32 v18, v29, v0
	v_and_or_b32 v19, 0x1ff, v23, v22
	v_add_nc_u32_e32 v29, 0xfffffc10, v30
	v_bfe_u32 v30, v23, 20, 11
	s_or_b32 s0, s1, s0
	v_cmp_ne_u32_e64 s2, v18, v31
	s_wait_alu 0xfffe
	v_add_co_ci_u32_e64 v4, s0, 0, v4, s0
	v_cmp_ne_u32_e64 s0, 0, v19
	v_lshl_or_b32 v22, v29, 12, v20
	s_wait_alu 0xf1ff
	v_cndmask_b32_e64 v18, 0, 1, s2
	v_and_or_b32 v8, 0x8000, v27, v8
	v_cmp_eq_u32_e64 s2, 0x40f, v29
	v_cndmask_b32_e64 v26, 0, 1, s0
	v_cmp_ne_u32_e64 s0, 0, v16
	v_or_b32_e32 v0, v0, v18
	v_cvt_f64_f32_e32 v[18:19], v10
	v_lshrrev_b32_e32 v10, 8, v23
	v_mul_f64_e32 v[24:25], s[10:11], v[24:25]
	s_wait_alu 0xf1ff
	v_cndmask_b32_e64 v16, 0, 1, s0
	v_cmp_gt_i32_e64 s0, 1, v29
	v_and_b32_e32 v8, 0xffff, v8
	v_and_or_b32 v10, 0xffe, v10, v26
	s_delay_alu instid0(VALU_DEP_4)
	v_lshl_or_b32 v16, v16, 9, 0x7c00
	s_wait_alu 0xf1ff
	v_cndmask_b32_e64 v0, v22, v0, s0
	v_sub_nc_u32_e32 v22, 0x3f1, v30
	v_cmp_gt_i32_e64 s0, 31, v28
	v_or_b32_e32 v31, 0x1000, v10
	s_delay_alu instid0(VALU_DEP_4) | instskip(NEXT) | instid1(VALU_DEP_4)
	v_and_b32_e32 v26, 7, v0
	v_med3_i32 v22, v22, 0, 13
	s_wait_alu 0xf1ff
	v_cndmask_b32_e64 v4, 0x7c00, v4, s0
	v_cmp_eq_u32_e64 s0, 0x40f, v28
	v_lshrrev_b32_e32 v0, 2, v0
	v_cmp_eq_u32_e64 s1, 3, v26
	s_wait_alu 0xf1ff
	s_delay_alu instid0(VALU_DEP_3) | instskip(SKIP_3) | instid1(VALU_DEP_3)
	v_cndmask_b32_e64 v4, v4, v16, s0
	v_lshrrev_b32_e32 v16, 16, v17
	v_lshrrev_b32_e32 v17, v22, v31
	v_cmp_lt_i32_e64 s0, 5, v26
	v_and_or_b32 v4, 0x8000, v16, v4
	s_delay_alu instid0(VALU_DEP_3) | instskip(NEXT) | instid1(VALU_DEP_3)
	v_lshlrev_b32_e32 v16, v22, v17
	s_or_b32 s0, s1, s0
	v_add_nc_u32_e32 v22, 0xfffffc10, v30
	s_wait_alu 0xfffe
	v_add_co_ci_u32_e64 v0, s0, 0, v0, s0
	v_cmp_ne_u32_e64 s0, v16, v31
	v_lshl_or_b32 v4, v4, 16, v8
	v_lshl_or_b32 v26, v22, 12, v10
	v_lshrrev_b32_e32 v31, 16, v128
	s_wait_alu 0xf1ff
	v_cndmask_b32_e64 v16, 0, 1, s0
	v_cmp_gt_i32_e64 s0, 31, v29
	v_bfe_u32 v27, v25, 20, 11
	s_delay_alu instid0(VALU_DEP_3) | instskip(SKIP_1) | instid1(VALU_DEP_3)
	v_or_b32_e32 v8, v17, v16
	s_wait_alu 0xf1ff
	v_cndmask_b32_e64 v0, 0x7c00, v0, s0
	v_cmp_ne_u32_e64 s0, 0, v20
	v_mul_f64_e32 v[16:17], s[10:11], v[18:19]
	v_and_or_b32 v18, 0x1ff, v25, v24
	v_lshrrev_b32_e32 v24, 16, v13
	s_wait_alu 0xf1ff
	v_cndmask_b32_e64 v19, 0, 1, s0
	v_cmp_gt_i32_e64 s0, 1, v22
	s_delay_alu instid0(VALU_DEP_3) | instskip(NEXT) | instid1(VALU_DEP_3)
	v_mul_f16_e32 v20, v31, v24
	v_lshl_or_b32 v30, v19, 9, 0x7c00
	s_wait_alu 0xf1ff
	s_delay_alu instid0(VALU_DEP_3)
	v_cndmask_b32_e64 v8, v26, v8, s0
	v_cmp_ne_u32_e64 s0, 0, v18
	v_lshrrev_b32_e32 v26, 8, v25
	v_fmac_f16_e64 v20, v128, v13
	v_cndmask_b32_e64 v0, v0, v30, s2
	v_and_b32_e32 v28, 7, v8
	s_wait_alu 0xf1ff
	v_cndmask_b32_e64 v18, 0, 1, s0
	v_lshrrev_b32_e32 v8, 2, v8
	v_cvt_f32_f16_e32 v19, v20
	v_and_or_b32 v0, 0x8000, v21, v0
	v_cmp_lt_i32_e64 s0, 5, v28
	v_and_or_b32 v26, 0xffe, v26, v18
	v_sub_nc_u32_e32 v18, 0x3f1, v27
	v_cmp_eq_u32_e64 s1, 3, v28
	v_mul_f16_e32 v13, v31, v13
	v_add_nc_u32_e32 v27, 0xfffffc10, v27
	v_or_b32_e32 v20, 0x1000, v26
	v_med3_i32 v28, v18, 0, 13
	v_cvt_f64_f32_e32 v[18:19], v19
	s_or_b32 s0, s1, s0
	v_fma_f16 v13, v128, v24, -v13
	s_wait_alu 0xfffe
	v_add_co_ci_u32_e64 v8, s0, 0, v8, s0
	v_lshrrev_b32_e32 v29, v28, v20
	v_cmp_ne_u32_e64 s0, 0, v10
	v_lshl_or_b32 v24, v27, 12, v26
	v_cvt_f32_f16_e32 v13, v13
	v_and_b32_e32 v0, 0xffff, v0
	v_lshlrev_b32_e32 v21, v28, v29
	s_wait_alu 0xf1ff
	v_cndmask_b32_e64 v10, 0, 1, s0
	v_cmp_gt_i32_e64 s0, 31, v22
	v_and_or_b32 v16, 0x1ff, v17, v16
	v_bfe_u32 v28, v17, 20, 11
	v_lshrrev_b32_e32 v25, 16, v25
	v_lshl_or_b32 v10, v10, 9, 0x7c00
	s_wait_alu 0xf1ff
	v_cndmask_b32_e64 v8, 0x7c00, v8, s0
	v_cmp_ne_u32_e64 s0, v21, v20
	v_lshrrev_b32_e32 v21, 8, v17
	s_wait_alu 0xf1ff
	s_delay_alu instid0(VALU_DEP_2) | instskip(SKIP_1) | instid1(VALU_DEP_2)
	v_cndmask_b32_e64 v20, 0, 1, s0
	v_cmp_ne_u32_e64 s0, 0, v16
	v_or_b32_e32 v20, v29, v20
	s_wait_alu 0xf1ff
	s_delay_alu instid0(VALU_DEP_2) | instskip(SKIP_1) | instid1(VALU_DEP_2)
	v_cndmask_b32_e64 v16, 0, 1, s0
	v_cmp_gt_i32_e64 s0, 1, v27
	v_and_or_b32 v29, 0xffe, v21, v16
	v_sub_nc_u32_e32 v16, 0x3f1, v28
	s_wait_alu 0xf1ff
	s_delay_alu instid0(VALU_DEP_3)
	v_cndmask_b32_e64 v24, v24, v20, s0
	v_cvt_f64_f32_e32 v[20:21], v13
	v_cmp_eq_u32_e64 s0, 0x40f, v22
	v_or_b32_e32 v30, 0x1000, v29
	v_med3_i32 v16, v16, 0, 13
	v_mul_f64_e32 v[18:19], s[10:11], v[18:19]
	v_and_b32_e32 v22, 7, v24
	s_wait_alu 0xf1ff
	v_cndmask_b32_e64 v8, v8, v10, s0
	v_add_co_u32 v13, s0, v14, s6
	v_lshrrev_b32_e32 v10, 16, v23
	v_lshrrev_b32_e32 v23, v16, v30
	s_wait_alu 0xf1ff
	v_add_co_ci_u32_e64 v14, s0, s7, v15, s0
	v_cmp_lt_i32_e64 s0, 5, v22
	v_cmp_eq_u32_e64 s1, 3, v22
	v_lshrrev_b32_e32 v15, 2, v24
	v_and_or_b32 v8, 0x8000, v10, v8
	v_lshlrev_b32_e32 v10, v16, v23
	v_add_nc_u32_e32 v22, 0xfffffc10, v28
	s_or_b32 s0, s1, s0
	v_lshrrev_b32_e32 v24, 16, v12
	s_wait_alu 0xfffe
	v_add_co_ci_u32_e64 v15, s0, 0, v15, s0
	v_cmp_ne_u32_e64 s2, v10, v30
	v_cmp_ne_u32_e64 s0, 0, v26
	v_lshrrev_b32_e32 v30, 16, v126
	v_lshl_or_b32 v0, v8, 16, v0
	s_wait_alu 0xf1ff
	v_cndmask_b32_e64 v10, 0, 1, s2
	v_cndmask_b32_e64 v16, 0, 1, s0
	v_cmp_gt_i32_e64 s0, 31, v27
	v_mul_f16_e32 v8, v30, v24
	s_delay_alu instid0(VALU_DEP_4)
	v_or_b32_e32 v10, v23, v10
	v_lshl_or_b32 v23, v22, 12, v29
	s_wait_alu 0xf1ff
	v_cndmask_b32_e64 v15, 0x7c00, v15, s0
	v_cmp_gt_i32_e64 s0, 1, v22
	v_lshl_or_b32 v16, v16, 9, 0x7c00
	v_fmac_f16_e32 v8, v126, v12
	v_mul_f16_e32 v12, v30, v12
	s_wait_alu 0xf1ff
	v_cndmask_b32_e64 v10, v23, v10, s0
	v_cmp_eq_u32_e64 s0, 0x40f, v27
	v_and_or_b32 v18, 0x1ff, v19, v18
	v_cvt_f32_f16_e32 v8, v8
	v_bfe_u32 v27, v19, 20, 11
	v_and_b32_e32 v26, 7, v10
	s_wait_alu 0xf1ff
	v_cndmask_b32_e64 v23, v15, v16, s0
	v_mul_f64_e32 v[15:16], s[10:11], v[20:21]
	v_cmp_ne_u32_e64 s2, 0, v18
	v_lshrrev_b32_e32 v10, 2, v10
	v_cmp_lt_i32_e64 s0, 5, v26
	v_cmp_eq_u32_e64 s1, 3, v26
	v_cvt_f64_f32_e32 v[20:21], v8
	s_wait_alu 0xf1ff
	v_cndmask_b32_e64 v18, 0, 1, s2
	v_lshrrev_b32_e32 v26, 8, v19
	v_fma_f16 v12, v126, v24, -v12
	s_or_b32 s0, s1, s0
	v_and_or_b32 v24, 0x8000, v25, v23
	s_wait_alu 0xfffe
	v_add_co_ci_u32_e64 v8, s0, 0, v10, s0
	v_cmp_ne_u32_e64 s0, 0, v29
	v_and_or_b32 v26, 0xffe, v26, v18
	v_sub_nc_u32_e32 v18, 0x3f1, v27
	v_add_nc_u32_e32 v25, 0xfffffc10, v27
	v_and_b32_e32 v24, 0xffff, v24
	s_wait_alu 0xf1ff
	v_cndmask_b32_e64 v10, 0, 1, s0
	v_cmp_gt_i32_e64 s0, 31, v22
	v_or_b32_e32 v28, 0x1000, v26
	v_med3_i32 v29, v18, 0, 13
	v_lshrrev_b32_e32 v19, 16, v19
	v_lshl_or_b32 v10, v10, 9, 0x7c00
	s_wait_alu 0xf1ff
	v_cndmask_b32_e64 v8, 0x7c00, v8, s0
	v_cmp_eq_u32_e64 s0, 0x40f, v22
	v_lshrrev_b32_e32 v30, v29, v28
	s_wait_alu 0xf1ff
	s_delay_alu instid0(VALU_DEP_2) | instskip(SKIP_1) | instid1(VALU_DEP_3)
	v_cndmask_b32_e64 v8, v8, v10, s0
	v_lshrrev_b32_e32 v10, 16, v17
	v_lshlrev_b32_e32 v22, v29, v30
	v_add_co_u32 v17, s0, v13, s6
	s_wait_alu 0xf1ff
	v_add_co_ci_u32_e64 v18, s0, s7, v14, s0
	v_and_or_b32 v8, 0x8000, v10, v8
	v_cvt_f32_f16_e32 v10, v12
	v_and_or_b32 v12, 0x1ff, v16, v15
	v_cmp_ne_u32_e64 s0, v22, v28
	v_bfe_u32 v27, v16, 20, 11
	v_lshl_or_b32 v28, v25, 12, v26
	v_cvt_f64_f32_e32 v[22:23], v10
	v_mul_f64_e32 v[20:21], s[10:11], v[20:21]
	s_wait_alu 0xf1ff
	v_cndmask_b32_e64 v15, 0, 1, s0
	v_cmp_ne_u32_e64 s0, 0, v12
	v_lshrrev_b32_e32 v12, 8, v16
	global_store_b32 v[13:14], v4, off
	global_store_b32 v[17:18], v0, off
	v_lshl_or_b32 v0, v8, 16, v24
	v_or_b32_e32 v15, v30, v15
	s_wait_alu 0xf1ff
	v_cndmask_b32_e64 v10, 0, 1, s0
	v_cmp_gt_i32_e64 s0, 1, v25
	v_add_nc_u32_e32 v24, 0xfffffc10, v27
	v_lshrrev_b32_e32 v16, 16, v16
	s_delay_alu instid0(VALU_DEP_4) | instskip(SKIP_3) | instid1(VALU_DEP_3)
	v_and_or_b32 v10, 0xffe, v12, v10
	v_sub_nc_u32_e32 v12, 0x3f1, v27
	s_wait_alu 0xf1ff
	v_cndmask_b32_e64 v15, v28, v15, s0
	v_or_b32_e32 v28, 0x1000, v10
	s_delay_alu instid0(VALU_DEP_3) | instskip(NEXT) | instid1(VALU_DEP_3)
	v_med3_i32 v29, v12, 0, 13
	v_and_b32_e32 v4, 7, v15
	v_add_co_u32 v12, s0, v17, s6
	s_wait_alu 0xf1ff
	v_add_co_ci_u32_e64 v13, s0, s7, v18, s0
	v_lshrrev_b32_e32 v8, v29, v28
	v_cmp_lt_i32_e64 s0, 5, v4
	v_cmp_eq_u32_e64 s1, 3, v4
	v_lshrrev_b32_e32 v15, 2, v15
	v_lshrrev_b32_e32 v4, 16, v7
	v_lshlrev_b32_e32 v14, v29, v8
	v_lshrrev_b32_e32 v29, 16, v124
	s_or_b32 s0, s1, s0
	v_lshl_or_b32 v27, v24, 12, v10
	s_wait_alu 0xfffe
	v_add_co_ci_u32_e64 v18, s0, 0, v15, s0
	v_cmp_ne_u32_e64 s2, v14, v28
	v_cmp_gt_i32_e64 s0, 31, v25
	v_mul_f16_e32 v17, v29, v4
	v_and_or_b32 v20, 0x1ff, v21, v20
	v_bfe_u32 v28, v21, 20, 11
	s_wait_alu 0xf1ff
	v_cndmask_b32_e64 v14, 0, 1, s2
	v_cmp_eq_u32_e64 s2, 0x40f, v25
	v_fmac_f16_e32 v17, v124, v7
	v_mul_f16_e32 v7, v29, v7
	global_store_b32 v[12:13], v0, off
	v_or_b32_e32 v8, v8, v14
	v_mul_f64_e32 v[14:15], s[10:11], v[22:23]
	v_cndmask_b32_e64 v22, 0x7c00, v18, s0
	v_cmp_gt_i32_e64 s0, 1, v24
	v_cvt_f32_f16_e32 v17, v17
	v_fma_f16 v4, v124, v4, -v7
	s_wait_alu 0xf1ff
	s_delay_alu instid0(VALU_DEP_3)
	v_cndmask_b32_e64 v8, v27, v8, s0
	v_cmp_ne_u32_e64 s0, 0, v26
	v_lshrrev_b32_e32 v27, 8, v21
	v_cvt_f64_f32_e32 v[17:18], v17
	v_cvt_f32_f16_e32 v4, v4
	v_and_b32_e32 v26, 7, v8
	s_wait_alu 0xf1ff
	v_cndmask_b32_e64 v23, 0, 1, s0
	v_cmp_ne_u32_e64 s0, 0, v20
	v_lshrrev_b32_e32 v8, 2, v8
	v_lshrrev_b32_e32 v21, 16, v21
	v_cmp_eq_u32_e64 s1, 3, v26
	v_lshl_or_b32 v23, v23, 9, 0x7c00
	s_wait_alu 0xf1ff
	v_cndmask_b32_e64 v20, 0, 1, s0
	v_cmp_lt_i32_e64 s0, 5, v26
	v_sub_nc_u32_e32 v26, 0x3f1, v28
	v_cndmask_b32_e64 v22, v22, v23, s2
	s_delay_alu instid0(VALU_DEP_4) | instskip(NEXT) | instid1(VALU_DEP_4)
	v_and_or_b32 v20, 0xffe, v27, v20
	s_or_b32 s0, s1, s0
	s_delay_alu instid0(VALU_DEP_3)
	v_med3_i32 v25, v26, 0, 13
	s_wait_alu 0xfffe
	v_add_co_ci_u32_e64 v8, s0, 0, v8, s0
	v_or_b32_e32 v23, 0x1000, v20
	v_cmp_ne_u32_e64 s0, 0, v10
	v_add_nc_u32_e32 v27, 0xfffffc10, v28
	v_and_or_b32 v19, 0x8000, v19, v22
	v_lshrrev_b32_e32 v28, 16, v122
	v_lshrrev_b32_e32 v26, v25, v23
	s_wait_alu 0xf1ff
	v_cndmask_b32_e64 v10, 0, 1, s0
	v_cmp_gt_i32_e64 s0, 31, v24
	v_and_b32_e32 v19, 0xffff, v19
	v_and_or_b32 v14, 0x1ff, v15, v14
	v_lshlrev_b32_e32 v25, v25, v26
	v_lshl_or_b32 v10, v10, 9, 0x7c00
	s_wait_alu 0xf1ff
	v_cndmask_b32_e64 v8, 0x7c00, v8, s0
	v_cmp_eq_u32_e64 s0, 0x40f, v24
	v_lshrrev_b32_e32 v24, 8, v15
	s_wait_alu 0xf1ff
	s_delay_alu instid0(VALU_DEP_2)
	v_cndmask_b32_e64 v10, v8, v10, s0
	v_cmp_ne_u32_e64 s0, v25, v23
	v_bfe_u32 v25, v15, 20, 11
	v_mul_f64_e32 v[7:8], s[10:11], v[17:18]
	v_cvt_f64_f32_e32 v[17:18], v4
	v_and_or_b32 v10, 0x8000, v16, v10
	s_wait_alu 0xf1ff
	v_cndmask_b32_e64 v23, 0, 1, s0
	v_cmp_ne_u32_e64 s0, 0, v14
	s_delay_alu instid0(VALU_DEP_3) | instskip(NEXT) | instid1(VALU_DEP_3)
	v_lshl_or_b32 v0, v10, 16, v19
	v_or_b32_e32 v23, v26, v23
	s_wait_alu 0xf1ff
	s_delay_alu instid0(VALU_DEP_3) | instskip(SKIP_1) | instid1(VALU_DEP_2)
	v_cndmask_b32_e64 v14, 0, 1, s0
	v_cmp_gt_i32_e64 s0, 1, v27
	v_and_or_b32 v4, 0xffe, v24, v14
	v_sub_nc_u32_e32 v14, 0x3f1, v25
	v_lshl_or_b32 v24, v27, 12, v20
	s_delay_alu instid0(VALU_DEP_3) | instskip(NEXT) | instid1(VALU_DEP_3)
	v_or_b32_e32 v26, 0x1000, v4
	v_med3_i32 v14, v14, 0, 13
	s_wait_alu 0xf1ff
	s_delay_alu instid0(VALU_DEP_3) | instskip(SKIP_3) | instid1(VALU_DEP_2)
	v_cndmask_b32_e64 v16, v24, v23, s0
	s_movk_i32 s0, 0xf871
	s_mov_b32 s1, -1
	v_lshrrev_b32_e32 v22, v14, v26
	v_and_b32_e32 v23, 7, v16
	s_wait_alu 0xfffe
	s_mul_u64 s[2:3], s[4:5], s[0:1]
	v_lshrrev_b32_e32 v16, 2, v16
	s_wait_alu 0xfffe
	s_lshl_b64 s[4:5], s[2:3], 2
	v_lshlrev_b32_e32 v14, v14, v22
	v_cmp_lt_i32_e64 s0, 5, v23
	s_delay_alu instid0(VALU_DEP_2)
	v_cmp_ne_u32_e64 s1, v14, v26
	v_add_nc_u32_e32 v14, 0xfffffc10, v25
	v_and_or_b32 v7, 0x1ff, v8, v7
	v_lshrrev_b32_e32 v24, 8, v8
	s_wait_alu 0xf1ff
	v_cndmask_b32_e64 v10, 0, 1, s1
	v_cmp_eq_u32_e64 s1, 3, v23
	v_lshl_or_b32 v19, v14, 12, v4
	v_lshrrev_b32_e32 v23, 16, v6
	v_bfe_u32 v25, v8, 20, 11
	v_or_b32_e32 v10, v22, v10
	s_or_b32 s0, s1, s0
	v_lshrrev_b32_e32 v8, 16, v8
	s_wait_alu 0xfffe
	v_add_co_ci_u32_e64 v22, s0, 0, v16, s0
	v_cmp_ne_u32_e64 s0, 0, v20
	v_mul_f64_e32 v[16:17], s[10:11], v[17:18]
	s_wait_alu 0xf1ff
	s_delay_alu instid0(VALU_DEP_2) | instskip(SKIP_2) | instid1(VALU_DEP_1)
	v_cndmask_b32_e64 v20, 0, 1, s0
	v_cmp_gt_i32_e64 s0, 1, v14
	s_wait_alu 0xf1ff
	v_cndmask_b32_e64 v10, v19, v10, s0
	v_cmp_gt_i32_e64 s0, 31, v27
	v_lshl_or_b32 v19, v20, 9, 0x7c00
	s_delay_alu instid0(VALU_DEP_3) | instskip(SKIP_1) | instid1(VALU_DEP_3)
	v_and_b32_e32 v20, 7, v10
	s_wait_alu 0xf1ff
	v_cndmask_b32_e64 v18, 0x7c00, v22, s0
	v_mul_f16_e32 v22, v28, v23
	v_cmp_ne_u32_e64 s0, 0, v7
	v_lshrrev_b32_e32 v10, 2, v10
	v_cmp_eq_u32_e64 s1, 3, v20
	s_delay_alu instid0(VALU_DEP_4)
	v_fmac_f16_e32 v22, v122, v6
	s_wait_alu 0xf1ff
	v_cndmask_b32_e64 v7, 0, 1, s0
	v_cmp_eq_u32_e64 s0, 0x40f, v27
	v_mul_f16_e32 v6, v28, v6
	v_lshrrev_b32_e32 v28, 16, v121
	s_delay_alu instid0(VALU_DEP_4)
	v_and_or_b32 v24, 0xffe, v24, v7
	s_wait_alu 0xf1ff
	v_cndmask_b32_e64 v26, v18, v19, s0
	v_cmp_lt_i32_e64 s0, 5, v20
	v_cvt_f32_f16_e32 v18, v22
	v_sub_nc_u32_e32 v7, 0x3f1, v25
	v_or_b32_e32 v20, 0x1000, v24
	v_fma_f16 v6, v122, v23, -v6
	s_or_b32 s0, s1, s0
	v_cvt_f64_f32_e32 v[18:19], v18
	s_wait_alu 0xfffe
	v_add_co_ci_u32_e64 v10, s0, 0, v10, s0
	v_med3_i32 v7, v7, 0, 13
	v_cmp_ne_u32_e64 s0, 0, v4
	v_cvt_f32_f16_e32 v6, v6
	v_bfe_u32 v23, v17, 20, 11
	v_and_or_b32 v21, 0x8000, v21, v26
	v_lshrrev_b32_e32 v22, v7, v20
	s_wait_alu 0xf1ff
	v_cndmask_b32_e64 v4, 0, 1, s0
	v_cmp_gt_i32_e64 s0, 31, v14
	s_delay_alu instid0(VALU_DEP_3) | instskip(NEXT) | instid1(VALU_DEP_3)
	v_lshlrev_b32_e32 v7, v7, v22
	v_lshl_or_b32 v4, v4, 9, 0x7c00
	s_wait_alu 0xf1ff
	s_delay_alu instid0(VALU_DEP_3) | instskip(SKIP_4) | instid1(VALU_DEP_3)
	v_cndmask_b32_e64 v10, 0x7c00, v10, s0
	v_cmp_eq_u32_e64 s0, 0x40f, v14
	v_and_or_b32 v14, 0x1ff, v17, v16
	v_add_nc_u32_e32 v16, 0xfffffc10, v25
	s_wait_alu 0xf1ff
	v_cndmask_b32_e64 v4, v10, v4, s0
	v_cmp_ne_u32_e64 s0, v7, v20
	v_lshrrev_b32_e32 v10, 16, v15
	v_lshrrev_b32_e32 v20, 8, v17
	v_cvt_f64_f32_e32 v[6:7], v6
	v_lshrrev_b32_e32 v17, 16, v17
	s_wait_alu 0xf1ff
	v_cndmask_b32_e64 v15, 0, 1, s0
	v_cmp_ne_u32_e64 s0, 0, v14
	v_and_or_b32 v4, 0x8000, v10, v4
	s_delay_alu instid0(VALU_DEP_3) | instskip(SKIP_1) | instid1(VALU_DEP_3)
	v_or_b32_e32 v10, v22, v15
	s_wait_alu 0xf1ff
	v_cndmask_b32_e64 v14, 0, 1, s0
	v_lshl_or_b32 v15, v16, 12, v24
	v_cmp_gt_i32_e64 s0, 1, v16
	s_delay_alu instid0(VALU_DEP_3) | instskip(SKIP_2) | instid1(VALU_DEP_3)
	v_and_or_b32 v22, 0xffe, v20, v14
	v_sub_nc_u32_e32 v14, 0x3f1, v23
	s_wait_alu 0xf1ff
	v_cndmask_b32_e64 v10, v15, v10, s0
	v_and_b32_e32 v20, 0xffff, v21
	v_add_co_u32 v12, s0, v12, s4
	v_med3_i32 v25, v14, 0, 13
	v_mul_f64_e32 v[14:15], s[10:11], v[18:19]
	v_or_b32_e32 v21, 0x1000, v22
	v_lshl_or_b32 v26, v4, 16, v20
	s_wait_alu 0xf1ff
	v_add_co_ci_u32_e64 v13, s0, s5, v13, s0
	v_and_b32_e32 v4, 7, v10
	v_lshrrev_b32_e32 v20, v25, v21
	v_add_co_u32 v18, s0, v12, s6
	s_wait_alu 0xf1ff
	v_add_co_ci_u32_e64 v19, s0, s7, v13, s0
	s_delay_alu instid0(VALU_DEP_3)
	v_lshlrev_b32_e32 v25, v25, v20
	v_cmp_lt_i32_e64 s0, 5, v4
	v_cmp_eq_u32_e64 s1, 3, v4
	v_lshrrev_b32_e32 v4, 16, v3
	v_lshrrev_b32_e32 v10, 2, v10
	v_cmp_ne_u32_e64 s2, v25, v21
	v_add_nc_u32_e32 v23, 0xfffffc10, v23
	s_or_b32 s0, s1, s0
	v_mul_f16_e32 v25, v28, v4
	s_wait_alu 0xfffe
	v_add_co_ci_u32_e64 v10, s0, 0, v10, s0
	v_cndmask_b32_e64 v21, 0, 1, s2
	v_cmp_ne_u32_e64 s0, 0, v24
	v_fmac_f16_e32 v25, v121, v3
	v_mul_f64_e32 v[6:7], s[10:11], v[6:7]
	v_mul_f16_e32 v3, v28, v3
	v_or_b32_e32 v20, v20, v21
	v_lshl_or_b32 v21, v23, 12, v22
	s_wait_alu 0xf1ff
	v_cndmask_b32_e64 v24, 0, 1, s0
	v_cmp_gt_i32_e64 s0, 1, v23
	v_cvt_f32_f16_e32 v25, v25
	v_fma_f16 v3, v121, v4, -v3
	global_store_b32 v[12:13], v0, off
	global_store_b32 v[18:19], v26, off
	v_lshl_or_b32 v24, v24, 9, 0x7c00
	s_wait_alu 0xf1ff
	v_cndmask_b32_e64 v27, v21, v20, s0
	v_cmp_gt_i32_e64 s0, 31, v16
	v_cvt_f64_f32_e32 v[20:21], v25
	v_and_or_b32 v14, 0x1ff, v15, v14
	v_cvt_f32_f16_e32 v3, v3
	v_and_b32_e32 v25, 7, v27
	s_wait_alu 0xf1ff
	v_cndmask_b32_e64 v10, 0x7c00, v10, s0
	v_cmp_eq_u32_e64 s0, 0x40f, v16
	v_cmp_ne_u32_e64 s1, 0, v14
	v_lshrrev_b32_e32 v16, 8, v15
	v_lshrrev_b32_e32 v28, 16, v119
	s_wait_alu 0xf1ff
	v_cndmask_b32_e64 v10, v10, v24, s0
	v_cmp_lt_i32_e64 s0, 5, v25
	v_cndmask_b32_e64 v14, 0, 1, s1
	v_cmp_eq_u32_e64 s1, 3, v25
	v_bfe_u32 v24, v15, 20, 11
	v_and_or_b32 v8, 0x8000, v8, v10
	v_lshrrev_b32_e32 v10, 2, v27
	v_and_or_b32 v14, 0xffe, v16, v14
	s_or_b32 s0, s1, s0
	v_sub_nc_u32_e32 v16, 0x3f1, v24
	v_add_nc_u32_e32 v24, 0xfffffc10, v24
	s_wait_alu 0xfffe
	v_add_co_ci_u32_e64 v10, s0, 0, v10, s0
	v_cmp_ne_u32_e64 s0, 0, v22
	v_or_b32_e32 v25, 0x1000, v14
	v_med3_i32 v16, v16, 0, 13
	v_and_or_b32 v4, 0x1ff, v7, v6
	v_and_b32_e32 v8, 0xffff, v8
	s_wait_alu 0xf1ff
	v_cndmask_b32_e64 v22, 0, 1, s0
	v_cmp_gt_i32_e64 s0, 31, v23
	v_lshrrev_b32_e32 v27, v16, v25
	v_cmp_eq_u32_e64 s2, 0x40f, v24
	s_delay_alu instid0(VALU_DEP_4)
	v_lshl_or_b32 v22, v22, 9, 0x7c00
	s_wait_alu 0xf1ff
	v_cndmask_b32_e64 v10, 0x7c00, v10, s0
	v_cmp_eq_u32_e64 s0, 0x40f, v23
	v_bfe_u32 v23, v7, 20, 11
	v_mul_f64_e32 v[20:21], s[10:11], v[20:21]
	s_wait_alu 0xf1ff
	s_delay_alu instid0(VALU_DEP_3)
	v_cndmask_b32_e64 v6, v10, v22, s0
	v_lshlrev_b32_e32 v10, v16, v27
	v_cmp_ne_u32_e64 s0, 0, v4
	v_cvt_f64_f32_e32 v[3:4], v3
	v_lshrrev_b32_e32 v22, 8, v7
	v_and_or_b32 v6, 0x8000, v17, v6
	v_lshrrev_b32_e32 v7, 16, v7
	s_wait_alu 0xf1ff
	v_cndmask_b32_e64 v16, 0, 1, s0
	v_cmp_ne_u32_e64 s0, v10, v25
	v_lshl_or_b32 v25, v24, 12, v14
	v_lshl_or_b32 v0, v6, 16, v8
	s_delay_alu instid0(VALU_DEP_4) | instskip(SKIP_4) | instid1(VALU_DEP_3)
	v_and_or_b32 v22, 0xffe, v22, v16
	s_wait_alu 0xf1ff
	v_cndmask_b32_e64 v10, 0, 1, s0
	v_sub_nc_u32_e32 v16, 0x3f1, v23
	v_cmp_gt_i32_e64 s0, 1, v24
	v_or_b32_e32 v10, v27, v10
	v_or_b32_e32 v27, 0x1000, v22
	s_delay_alu instid0(VALU_DEP_4) | instskip(SKIP_1) | instid1(VALU_DEP_3)
	v_med3_i32 v16, v16, 0, 13
	s_wait_alu 0xf1ff
	v_cndmask_b32_e64 v10, v25, v10, s0
	v_add_co_u32 v12, s0, v18, s6
	s_delay_alu instid0(VALU_DEP_3) | instskip(SKIP_1) | instid1(VALU_DEP_4)
	v_lshrrev_b32_e32 v17, v16, v27
	v_lshrrev_b32_e32 v25, 16, v9
	v_and_b32_e32 v6, 7, v10
	s_wait_alu 0xf1ff
	v_add_co_ci_u32_e64 v13, s0, s7, v19, s0
	v_lshlrev_b32_e32 v8, v16, v17
	v_add_nc_u32_e32 v18, 0xfffffc10, v23
	v_cmp_lt_i32_e64 s0, 5, v6
	v_mul_f16_e32 v16, v28, v25
	global_store_b32 v[12:13], v0, off
	v_cmp_ne_u32_e64 s1, v8, v27
	v_and_or_b32 v19, 0x1ff, v21, v20
	v_bfe_u32 v20, v21, 20, 11
	v_fmac_f16_e32 v16, v119, v9
	v_mul_f16_e32 v9, v28, v9
	s_wait_alu 0xf1ff
	v_cndmask_b32_e64 v8, 0, 1, s1
	v_cmp_eq_u32_e64 s1, 3, v6
	v_lshrrev_b32_e32 v6, 2, v10
	v_mul_f64_e32 v[3:4], s[10:11], v[3:4]
	v_lshl_or_b32 v10, v18, 12, v22
	v_or_b32_e32 v8, v17, v8
	s_or_b32 s0, s1, s0
	v_cvt_f32_f16_e32 v16, v16
	s_wait_alu 0xfffe
	v_add_co_ci_u32_e64 v6, s0, 0, v6, s0
	v_cmp_gt_i32_e64 s0, 1, v18
	s_delay_alu instid0(VALU_DEP_3) | instskip(SKIP_1) | instid1(VALU_DEP_2)
	v_cvt_f64_f32_e32 v[16:17], v16
	s_wait_alu 0xf1ff
	v_cndmask_b32_e64 v8, v10, v8, s0
	v_cmp_ne_u32_e64 s0, 0, v19
	v_lshrrev_b32_e32 v19, 8, v21
	v_lshrrev_b32_e32 v21, 16, v21
	s_delay_alu instid0(VALU_DEP_4)
	v_and_b32_e32 v23, 7, v8
	s_wait_alu 0xf1ff
	v_cndmask_b32_e64 v10, 0, 1, s0
	v_cmp_ne_u32_e64 s0, 0, v14
	v_lshrrev_b32_e32 v8, 2, v8
	v_cmp_eq_u32_e64 s1, 3, v23
	s_delay_alu instid0(VALU_DEP_4)
	v_and_or_b32 v10, 0xffe, v19, v10
	v_sub_nc_u32_e32 v19, 0x3f1, v20
	s_wait_alu 0xf1ff
	v_cndmask_b32_e64 v14, 0, 1, s0
	v_cmp_gt_i32_e64 s0, 31, v24
	v_add_nc_u32_e32 v20, 0xfffffc10, v20
	v_or_b32_e32 v26, 0x1000, v10
	v_med3_i32 v19, v19, 0, 13
	v_lshl_or_b32 v14, v14, 9, 0x7c00
	s_wait_alu 0xf1ff
	v_cndmask_b32_e64 v6, 0x7c00, v6, s0
	v_cmp_lt_i32_e64 s0, 5, v23
	v_lshrrev_b32_e32 v24, 16, v15
	v_lshrrev_b32_e32 v23, v19, v26
	s_delay_alu instid0(VALU_DEP_4) | instskip(NEXT) | instid1(VALU_DEP_4)
	v_cndmask_b32_e64 v6, v6, v14, s2
	s_or_b32 s0, s1, s0
	v_and_or_b32 v3, 0x1ff, v4, v3
	s_wait_alu 0xfffe
	v_add_co_ci_u32_e64 v8, s0, 0, v8, s0
	v_lshlrev_b32_e32 v14, v19, v23
	v_cmp_gt_i32_e64 s0, 31, v18
	v_bfe_u32 v27, v4, 20, 11
	v_and_or_b32 v6, 0x8000, v24, v6
	s_wait_alu 0xf1ff
	s_delay_alu instid0(VALU_DEP_3) | instskip(SKIP_4) | instid1(VALU_DEP_3)
	v_cndmask_b32_e64 v19, 0x7c00, v8, s0
	v_cmp_ne_u32_e64 s0, v14, v26
	v_fma_f16 v8, v119, v25, -v9
	v_lshrrev_b32_e32 v26, 8, v4
	s_wait_alu 0xf1ff
	v_cndmask_b32_e64 v25, 0, 1, s0
	v_cmp_ne_u32_e64 s0, 0, v3
	v_cvt_f32_f16_e32 v14, v8
	v_mul_f64_e32 v[8:9], s[10:11], v[16:17]
	v_sub_nc_u32_e32 v17, 0x3f1, v27
	s_wait_alu 0xf1ff
	v_cndmask_b32_e64 v3, 0, 1, s0
	v_cmp_ne_u32_e64 s0, 0, v22
	v_cvt_f64_f32_e32 v[14:15], v14
	v_or_b32_e32 v22, v23, v25
	v_lshl_or_b32 v23, v20, 12, v10
	v_and_or_b32 v3, 0xffe, v26, v3
	s_wait_alu 0xf1ff
	v_cndmask_b32_e64 v16, 0, 1, s0
	v_cmp_gt_i32_e64 s0, 1, v20
	v_med3_i32 v17, v17, 0, 13
	v_or_b32_e32 v25, 0x1000, v3
	s_delay_alu instid0(VALU_DEP_4)
	v_lshl_or_b32 v16, v16, 9, 0x7c00
	s_wait_alu 0xf1ff
	v_cndmask_b32_e64 v22, v23, v22, s0
	v_cmp_eq_u32_e64 s0, 0x40f, v18
	v_lshrrev_b32_e32 v18, v17, v25
	s_wait_alu 0xf1ff
	s_delay_alu instid0(VALU_DEP_2) | instskip(SKIP_1) | instid1(VALU_DEP_2)
	v_cndmask_b32_e64 v16, v19, v16, s0
	v_and_b32_e32 v19, 7, v22
	v_and_or_b32 v0, 0x8000, v7, v16
	v_lshlrev_b32_e32 v7, v17, v18
	s_delay_alu instid0(VALU_DEP_3)
	v_cmp_lt_i32_e64 s0, 5, v19
	v_cmp_eq_u32_e64 s1, 3, v19
	v_and_b32_e32 v16, 0xffff, v6
	v_lshrrev_b32_e32 v6, 2, v22
	v_cmp_ne_u32_e64 s2, v7, v25
	v_add_nc_u32_e32 v17, 0xfffffc10, v27
	s_or_b32 s0, s1, s0
	v_lshrrev_b32_e32 v25, 16, v117
	s_wait_alu 0xfffe
	v_add_co_ci_u32_e64 v19, s0, 0, v6, s0
	v_cndmask_b32_e64 v7, 0, 1, s2
	v_cmp_ne_u32_e64 s0, 0, v10
	v_and_or_b32 v8, 0x1ff, v9, v8
	v_cmp_eq_u32_e64 s2, 0x40f, v20
	v_lshrrev_b32_e32 v23, 8, v9
	v_or_b32_e32 v6, v18, v7
	v_lshl_or_b32 v7, v17, 12, v3
	s_wait_alu 0xf1ff
	v_cndmask_b32_e64 v10, 0, 1, s0
	v_cmp_gt_i32_e64 s0, 1, v17
	v_lshrrev_b32_e32 v18, 16, v5
	v_bfe_u32 v24, v9, 20, 11
	v_lshl_or_b32 v0, v0, 16, v16
	v_lshl_or_b32 v10, v10, 9, 0x7c00
	s_wait_alu 0xf1ff
	v_cndmask_b32_e64 v22, v7, v6, s0
	v_mul_f64_e32 v[6:7], s[10:11], v[14:15]
	v_mul_f16_e32 v14, v25, v18
	v_cmp_gt_i32_e64 s0, 31, v20
	v_lshrrev_b32_e32 v9, 16, v9
	v_and_b32_e32 v15, 7, v22
	s_delay_alu instid0(VALU_DEP_4)
	v_fmac_f16_e32 v14, v117, v5
	s_wait_alu 0xf1ff
	v_cndmask_b32_e64 v19, 0x7c00, v19, s0
	v_cmp_ne_u32_e64 s0, 0, v8
	v_cmp_eq_u32_e64 s1, 3, v15
	v_mul_f16_e32 v5, v25, v5
	v_cvt_f32_f16_e32 v14, v14
	v_cndmask_b32_e64 v10, v19, v10, s2
	s_wait_alu 0xf1ff
	v_cndmask_b32_e64 v8, 0, 1, s0
	v_cmp_lt_i32_e64 s0, 5, v15
	v_lshrrev_b32_e32 v19, 2, v22
	v_cvt_f64_f32_e32 v[14:15], v14
	v_and_or_b32 v10, 0x8000, v21, v10
	v_and_or_b32 v8, 0xffe, v23, v8
	s_or_b32 s0, s1, s0
	v_sub_nc_u32_e32 v23, 0x3f1, v24
	s_wait_alu 0xfffe
	v_add_co_ci_u32_e64 v19, s0, 0, v19, s0
	v_cmp_ne_u32_e64 s0, 0, v3
	v_or_b32_e32 v20, 0x1000, v8
	v_med3_i32 v22, v23, 0, 13
	v_and_b32_e32 v10, 0xffff, v10
	v_lshrrev_b32_e32 v25, 16, v115
	s_wait_alu 0xf1ff
	v_cndmask_b32_e64 v3, 0, 1, s0
	v_cmp_gt_i32_e64 s0, 31, v17
	v_lshrrev_b32_e32 v23, v22, v20
	s_delay_alu instid0(VALU_DEP_3) | instskip(SKIP_1) | instid1(VALU_DEP_3)
	v_lshl_or_b32 v3, v3, 9, 0x7c00
	s_wait_alu 0xf1ff
	v_cndmask_b32_e64 v19, 0x7c00, v19, s0
	v_cmp_eq_u32_e64 s0, 0x40f, v17
	v_lshlrev_b32_e32 v21, v22, v23
	v_bfe_u32 v22, v7, 20, 11
	s_wait_alu 0xf1ff
	s_delay_alu instid0(VALU_DEP_3)
	v_cndmask_b32_e64 v17, v19, v3, s0
	v_fma_f16 v3, v117, v18, -v5
	v_and_or_b32 v5, 0x1ff, v7, v6
	v_cmp_ne_u32_e64 s0, v21, v20
	v_add_nc_u32_e32 v19, 0xfffffc10, v24
	v_lshrrev_b32_e32 v21, 8, v7
	v_cvt_f32_f16_e32 v3, v3
	s_wait_alu 0xf1ff
	v_cndmask_b32_e64 v18, 0, 1, s0
	v_cmp_ne_u32_e64 s0, 0, v5
	s_delay_alu instid0(VALU_DEP_3) | instskip(NEXT) | instid1(VALU_DEP_3)
	v_cvt_f64_f32_e32 v[5:6], v3
	v_or_b32_e32 v3, v23, v18
	s_wait_alu 0xf1ff
	s_delay_alu instid0(VALU_DEP_3) | instskip(SKIP_3) | instid1(VALU_DEP_4)
	v_cndmask_b32_e64 v20, 0, 1, s0
	v_lshl_or_b32 v18, v19, 12, v8
	v_cmp_gt_i32_e64 s0, 1, v19
	v_lshrrev_b32_e32 v23, 16, v4
	v_and_or_b32 v20, 0xffe, v21, v20
	v_sub_nc_u32_e32 v21, 0x3f1, v22
	s_wait_alu 0xf1ff
	v_cndmask_b32_e64 v18, v18, v3, s0
	v_mul_f64_e32 v[3:4], s[10:11], v[14:15]
	v_and_or_b32 v16, 0x8000, v23, v17
	v_or_b32_e32 v14, 0x1000, v20
	v_med3_i32 v15, v21, 0, 13
	v_and_b32_e32 v17, 7, v18
	v_add_co_u32 v12, s0, v12, s6
	s_wait_alu 0xf1ff
	v_add_co_ci_u32_e64 v13, s0, s7, v13, s0
	v_lshrrev_b32_e32 v21, v15, v14
	v_cmp_lt_i32_e64 s0, 5, v17
	v_cmp_eq_u32_e64 s1, 3, v17
	v_lshl_or_b32 v10, v16, 16, v10
	v_lshrrev_b32_e32 v16, 2, v18
	v_lshlrev_b32_e32 v15, v15, v21
	v_lshrrev_b32_e32 v23, 16, v2
	s_or_b32 s0, s1, s0
	v_add_nc_u32_e32 v18, 0xfffffc10, v22
	s_wait_alu 0xfffe
	v_add_co_ci_u32_e64 v16, s0, 0, v16, s0
	v_cmp_ne_u32_e64 s2, v15, v14
	v_mul_f16_e32 v15, v25, v23
	v_cmp_ne_u32_e64 s0, 0, v8
	v_lshl_or_b32 v17, v18, 12, v20
	s_wait_alu 0xf1ff
	v_cndmask_b32_e64 v14, 0, 1, s2
	v_fmac_f16_e32 v15, v115, v2
	v_cndmask_b32_e64 v8, 0, 1, s0
	v_mul_f64_e32 v[5:6], s[10:11], v[5:6]
	v_cmp_gt_i32_e64 s0, 1, v18
	v_or_b32_e32 v14, v21, v14
	s_delay_alu instid0(VALU_DEP_4) | instskip(SKIP_1) | instid1(VALU_DEP_2)
	v_lshl_or_b32 v8, v8, 9, 0x7c00
	s_wait_alu 0xf1ff
	v_cndmask_b32_e64 v21, v17, v14, s0
	v_cvt_f32_f16_e32 v14, v15
	v_cmp_gt_i32_e64 s0, 31, v19
	v_and_or_b32 v3, 0x1ff, v4, v3
	s_delay_alu instid0(VALU_DEP_4) | instskip(NEXT) | instid1(VALU_DEP_4)
	v_and_b32_e32 v24, 7, v21
	v_cvt_f64_f32_e32 v[14:15], v14
	s_wait_alu 0xf1ff
	v_cndmask_b32_e64 v22, 0x7c00, v16, s0
	v_add_co_u32 v16, s0, v12, s6
	s_wait_alu 0xf1ff
	v_add_co_ci_u32_e64 v17, s0, s7, v13, s0
	v_cmp_eq_u32_e64 s0, 0x40f, v19
	v_cmp_ne_u32_e64 s1, 0, v3
	v_lshrrev_b32_e32 v21, 2, v21
	v_lshrrev_b32_e32 v19, 8, v4
	global_store_b32 v[12:13], v0, off
	global_store_b32 v[16:17], v10, off
	s_wait_alu 0xf1ff
	v_cndmask_b32_e64 v8, v22, v8, s0
	v_cmp_lt_i32_e64 s0, 5, v24
	v_cndmask_b32_e64 v3, 0, 1, s1
	v_cmp_eq_u32_e64 s1, 3, v24
	v_bfe_u32 v22, v4, 20, 11
	v_and_or_b32 v9, 0x8000, v9, v8
	v_lshrrev_b32_e32 v4, 16, v4
	v_and_or_b32 v19, 0xffe, v19, v3
	s_or_b32 s0, s1, s0
	v_sub_nc_u32_e32 v3, 0x3f1, v22
	s_wait_alu 0xfffe
	v_add_co_ci_u32_e64 v21, s0, 0, v21, s0
	v_cmp_ne_u32_e64 s0, 0, v20
	v_or_b32_e32 v24, 0x1000, v19
	v_med3_i32 v3, v3, 0, 13
	v_and_or_b32 v5, 0x1ff, v6, v5
	v_bfe_u32 v26, v6, 20, 11
	s_wait_alu 0xf1ff
	v_cndmask_b32_e64 v20, 0, 1, s0
	v_cmp_gt_i32_e64 s0, 31, v18
	v_lshrrev_b32_e32 v8, v3, v24
	v_and_b32_e32 v9, 0xffff, v9
	s_delay_alu instid0(VALU_DEP_4) | instskip(SKIP_4) | instid1(VALU_DEP_1)
	v_lshl_or_b32 v20, v20, 9, 0x7c00
	s_wait_alu 0xf1ff
	v_cndmask_b32_e64 v21, 0x7c00, v21, s0
	v_cmp_eq_u32_e64 s0, 0x40f, v18
	s_wait_alu 0xf1ff
	v_cndmask_b32_e64 v18, v21, v20, s0
	v_lshrrev_b32_e32 v20, 16, v7
	v_lshlrev_b32_e32 v7, v3, v8
	v_mul_f16_e32 v21, v25, v2
	v_cmp_ne_u32_e64 s0, 0, v5
	v_lshrrev_b32_e32 v25, 8, v6
	v_mul_f64_e32 v[2:3], s[10:11], v[14:15]
	v_add_nc_u32_e32 v15, 0xfffffc10, v22
	v_fma_f16 v14, v115, v23, -v21
	s_wait_alu 0xf1ff
	v_cndmask_b32_e64 v5, 0, 1, s0
	v_cmp_ne_u32_e64 s0, v7, v24
	v_sub_nc_u32_e32 v21, 0x3f1, v26
	v_lshl_or_b32 v23, v15, 12, v19
	v_cvt_f32_f16_e32 v14, v14
	v_and_or_b32 v5, 0xffe, v25, v5
	s_wait_alu 0xf1ff
	v_cndmask_b32_e64 v7, 0, 1, s0
	v_cmp_gt_i32_e64 s0, 1, v15
	v_and_or_b32 v18, 0x8000, v20, v18
	v_cmp_eq_u32_e64 s2, 0x40f, v15
	v_or_b32_e32 v24, 0x1000, v5
	v_or_b32_e32 v22, v8, v7
	v_cvt_f64_f32_e32 v[7:8], v14
	v_med3_i32 v14, v21, 0, 13
	v_lshl_or_b32 v18, v18, 16, v9
	v_lshrrev_b32_e32 v6, 16, v6
	s_wait_alu 0xf1ff
	v_cndmask_b32_e64 v20, v23, v22, s0
	v_add_co_u32 v9, s0, v16, s6
	v_lshrrev_b32_e32 v21, v14, v24
	s_wait_alu 0xf1ff
	v_add_co_ci_u32_e64 v10, s0, s7, v17, s0
	v_and_b32_e32 v0, 7, v20
	v_add_nc_u32_e32 v16, 0xfffffc10, v26
	v_lshlrev_b32_e32 v12, v14, v21
	v_lshrrev_b32_e32 v14, 16, v1
	s_delay_alu instid0(VALU_DEP_4) | instskip(NEXT) | instid1(VALU_DEP_4)
	v_cmp_lt_i32_e64 s0, 5, v0
	v_lshl_or_b32 v17, v16, 12, v5
	s_delay_alu instid0(VALU_DEP_4) | instskip(SKIP_2) | instid1(VALU_DEP_2)
	v_cmp_ne_u32_e64 s1, v12, v24
	v_lshrrev_b32_e32 v24, 16, v113
	s_wait_alu 0xf1ff
	v_cndmask_b32_e64 v12, 0, 1, s1
	v_cmp_eq_u32_e64 s1, 3, v0
	v_lshrrev_b32_e32 v0, 2, v20
	v_mul_f16_e32 v13, v24, v14
	v_and_or_b32 v2, 0x1ff, v3, v2
	v_or_b32_e32 v12, v21, v12
	s_or_b32 s0, s1, s0
	v_lshrrev_b32_e32 v20, 8, v3
	s_wait_alu 0xfffe
	v_add_co_ci_u32_e64 v0, s0, 0, v0, s0
	v_cmp_gt_i32_e64 s0, 1, v16
	v_fmac_f16_e32 v13, v113, v1
	v_bfe_u32 v21, v3, 20, 11
	s_wait_alu 0xf1ff
	s_delay_alu instid0(VALU_DEP_3) | instskip(SKIP_3) | instid1(VALU_DEP_4)
	v_cndmask_b32_e64 v17, v17, v12, s0
	v_cmp_ne_u32_e64 s0, 0, v2
	v_cvt_f32_f16_e32 v13, v13
	v_mul_f64_e32 v[7:8], s[10:11], v[7:8]
	v_and_b32_e32 v22, 7, v17
	s_wait_alu 0xf1ff
	v_cndmask_b32_e64 v2, 0, 1, s0
	v_cmp_ne_u32_e64 s0, 0, v19
	v_cvt_f64_f32_e32 v[12:13], v13
	v_lshrrev_b32_e32 v17, 2, v17
	v_cmp_eq_u32_e64 s1, 3, v22
	v_and_or_b32 v2, 0xffe, v20, v2
	s_wait_alu 0xf1ff
	v_cndmask_b32_e64 v19, 0, 1, s0
	v_cmp_gt_i32_e64 s0, 31, v15
	v_sub_nc_u32_e32 v20, 0x3f1, v21
	v_add_nc_u32_e32 v21, 0xfffffc10, v21
	v_or_b32_e32 v23, 0x1000, v2
	v_lshl_or_b32 v19, v19, 9, 0x7c00
	s_wait_alu 0xf1ff
	v_cndmask_b32_e64 v0, 0x7c00, v0, s0
	v_cmp_lt_i32_e64 s0, 5, v22
	v_med3_i32 v20, v20, 0, 13
	v_lshrrev_b32_e32 v22, 16, v111
	s_delay_alu instid0(VALU_DEP_4) | instskip(NEXT) | instid1(VALU_DEP_4)
	v_cndmask_b32_e64 v0, v0, v19, s2
	s_or_b32 s0, s1, s0
	s_delay_alu instid0(VALU_DEP_3) | instskip(SKIP_3) | instid1(VALU_DEP_3)
	v_lshrrev_b32_e32 v15, v20, v23
	s_wait_alu 0xfffe
	v_add_co_ci_u32_e64 v17, s0, 0, v17, s0
	v_cmp_ne_u32_e64 s0, 0, v5
	v_lshlrev_b32_e32 v19, v20, v15
	v_and_or_b32 v20, 0x8000, v4, v0
	s_wait_alu 0xf1ff
	s_delay_alu instid0(VALU_DEP_3) | instskip(SKIP_1) | instid1(VALU_DEP_2)
	v_cndmask_b32_e64 v5, 0, 1, s0
	v_cmp_gt_i32_e64 s0, 31, v16
	v_lshl_or_b32 v5, v5, 9, 0x7c00
	s_wait_alu 0xf1ff
	s_delay_alu instid0(VALU_DEP_2) | instskip(SKIP_3) | instid1(VALU_DEP_2)
	v_cndmask_b32_e64 v17, 0x7c00, v17, s0
	v_cmp_ne_u32_e64 s0, v19, v23
	v_and_or_b32 v7, 0x1ff, v8, v7
	s_wait_alu 0xf1ff
	v_cndmask_b32_e64 v19, 0, 1, s0
	v_cmp_eq_u32_e64 s0, 0x40f, v16
	v_lshrrev_b32_e32 v16, 16, v11
	s_wait_alu 0xf1ff
	s_delay_alu instid0(VALU_DEP_2)
	v_cndmask_b32_e64 v4, v17, v5, s0
	v_or_b32_e32 v5, v15, v19
	v_mul_f16_e32 v15, v24, v1
	v_mul_f64_e32 v[0:1], s[10:11], v[12:13]
	v_lshl_or_b32 v12, v21, 12, v2
	v_cmp_gt_i32_e64 s0, 1, v21
	v_and_or_b32 v6, 0x8000, v6, v4
	v_fma_f16 v13, v113, v14, -v15
	v_bfe_u32 v14, v8, 20, 11
	v_and_b32_e32 v17, 0xffff, v20
	s_wait_alu 0xf1ff
	v_cndmask_b32_e64 v12, v12, v5, s0
	v_cmp_ne_u32_e64 s0, 0, v7
	v_cvt_f32_f16_e32 v5, v13
	v_lshrrev_b32_e32 v13, 8, v8
	v_mul_f16_e32 v20, v22, v16
	v_and_b32_e32 v15, 7, v12
	s_wait_alu 0xf1ff
	v_cndmask_b32_e64 v7, 0, 1, s0
	v_cvt_f64_f32_e32 v[4:5], v5
	v_lshrrev_b32_e32 v8, 16, v8
	v_fmac_f16_e32 v20, v111, v11
	v_cmp_lt_i32_e64 s0, 5, v15
	v_and_or_b32 v13, 0xffe, v13, v7
	v_sub_nc_u32_e32 v7, 0x3f1, v14
	v_cmp_eq_u32_e64 s1, 3, v15
	v_lshl_or_b32 v15, v6, 16, v17
	v_lshrrev_b32_e32 v6, 2, v12
	v_or_b32_e32 v19, 0x1000, v13
	v_med3_i32 v7, v7, 0, 13
	s_or_b32 s0, s1, s0
	v_add_nc_u32_e32 v14, 0xfffffc10, v14
	s_wait_alu 0xfffe
	v_add_co_ci_u32_e64 v6, s0, 0, v6, s0
	v_lshrrev_b32_e32 v12, v7, v19
	v_cmp_ne_u32_e64 s0, 0, v2
	v_mul_f16_e32 v11, v22, v11
	s_delay_alu instid0(VALU_DEP_3) | instskip(SKIP_1) | instid1(VALU_DEP_3)
	v_lshlrev_b32_e32 v17, v7, v12
	s_wait_alu 0xf1ff
	v_cndmask_b32_e64 v2, 0, 1, s0
	v_cvt_f32_f16_e32 v7, v20
	v_cmp_gt_i32_e64 s0, 31, v21
	v_and_or_b32 v0, 0x1ff, v1, v0
	v_fma_f16 v11, v111, v16, -v11
	v_lshl_or_b32 v16, v14, 12, v13
	v_lshl_or_b32 v2, v2, 9, 0x7c00
	s_wait_alu 0xf1ff
	v_cndmask_b32_e64 v20, 0x7c00, v6, s0
	v_cvt_f64_f32_e32 v[6:7], v7
	v_cmp_ne_u32_e64 s0, v17, v19
	v_lshrrev_b32_e32 v19, 8, v1
	v_cvt_f32_f16_e32 v11, v11
	s_wait_alu 0xf1ff
	s_delay_alu instid0(VALU_DEP_3) | instskip(SKIP_2) | instid1(VALU_DEP_3)
	v_cndmask_b32_e64 v17, 0, 1, s0
	v_cmp_ne_u32_e64 s0, 0, v0
	v_mul_f64_e32 v[4:5], s[10:11], v[4:5]
	v_or_b32_e32 v12, v12, v17
	s_wait_alu 0xf1ff
	s_delay_alu instid0(VALU_DEP_3) | instskip(SKIP_3) | instid1(VALU_DEP_4)
	v_cndmask_b32_e64 v0, 0, 1, s0
	v_bfe_u32 v17, v1, 20, 11
	v_cmp_gt_i32_e64 s0, 1, v14
	v_lshrrev_b32_e32 v1, 16, v1
	v_and_or_b32 v0, 0xffe, v19, v0
	s_delay_alu instid0(VALU_DEP_4)
	v_sub_nc_u32_e32 v19, 0x3f1, v17
	s_wait_alu 0xf1ff
	v_cndmask_b32_e64 v16, v16, v12, s0
	v_cmp_eq_u32_e64 s0, 0x40f, v21
	v_cvt_f64_f32_e32 v[11:12], v11
	v_or_b32_e32 v22, 0x1000, v0
	v_med3_i32 v19, v19, 0, 13
	v_and_b32_e32 v23, 7, v16
	s_wait_alu 0xf1ff
	v_cndmask_b32_e64 v20, v20, v2, s0
	v_add_co_u32 v2, s0, v9, s6
	v_lshrrev_b32_e32 v24, v19, v22
	v_lshrrev_b32_e32 v21, 16, v3
	s_wait_alu 0xf1ff
	v_add_co_ci_u32_e64 v3, s0, s7, v10, s0
	v_cmp_lt_i32_e64 s0, 5, v23
	v_cmp_eq_u32_e64 s1, 3, v23
	v_lshrrev_b32_e32 v16, 2, v16
	v_lshlrev_b32_e32 v19, v19, v24
	v_add_nc_u32_e32 v17, 0xfffffc10, v17
	v_and_or_b32 v20, 0x8000, v21, v20
	s_or_b32 s0, s1, s0
	v_mul_f64_e32 v[6:7], s[10:11], v[6:7]
	s_wait_alu 0xfffe
	v_add_co_ci_u32_e64 v16, s0, 0, v16, s0
	v_cmp_ne_u32_e64 s2, v19, v22
	v_cmp_ne_u32_e64 s0, 0, v13
	v_lshl_or_b32 v21, v17, 12, v0
	s_wait_alu 0xf1ff
	s_delay_alu instid0(VALU_DEP_3) | instskip(NEXT) | instid1(VALU_DEP_3)
	v_cndmask_b32_e64 v19, 0, 1, s2
	v_cndmask_b32_e64 v13, 0, 1, s0
	v_cmp_gt_i32_e64 s0, 31, v14
	v_and_or_b32 v4, 0x1ff, v5, v4
	s_delay_alu instid0(VALU_DEP_4) | instskip(NEXT) | instid1(VALU_DEP_4)
	v_or_b32_e32 v19, v24, v19
	v_lshl_or_b32 v13, v13, 9, 0x7c00
	s_wait_alu 0xf1ff
	v_cndmask_b32_e64 v16, 0x7c00, v16, s0
	v_cmp_gt_i32_e64 s0, 1, v17
	v_mul_f64_e32 v[11:12], s[10:11], v[11:12]
	s_wait_alu 0xf1ff
	s_delay_alu instid0(VALU_DEP_2) | instskip(SKIP_2) | instid1(VALU_DEP_3)
	v_cndmask_b32_e64 v19, v21, v19, s0
	v_cmp_eq_u32_e64 s0, 0x40f, v14
	v_bfe_u32 v21, v5, 20, 11
	v_and_b32_e32 v14, 7, v19
	s_wait_alu 0xf1ff
	s_delay_alu instid0(VALU_DEP_3)
	v_cndmask_b32_e64 v13, v16, v13, s0
	v_cmp_ne_u32_e64 s0, 0, v4
	v_lshrrev_b32_e32 v16, 8, v5
	v_lshrrev_b32_e32 v5, 16, v5
	v_cmp_eq_u32_e64 s1, 3, v14
	v_and_or_b32 v8, 0x8000, v8, v13
	v_and_b32_e32 v13, 0xffff, v20
	s_wait_alu 0xf1ff
	v_cndmask_b32_e64 v4, 0, 1, s0
	v_cmp_lt_i32_e64 s0, 5, v14
	s_delay_alu instid0(VALU_DEP_3) | instskip(SKIP_1) | instid1(VALU_DEP_4)
	v_lshl_or_b32 v8, v8, 16, v13
	v_lshrrev_b32_e32 v13, 2, v19
	v_and_or_b32 v4, 0xffe, v16, v4
	v_sub_nc_u32_e32 v16, 0x3f1, v21
	s_or_b32 s0, s1, s0
	v_and_or_b32 v6, 0x1ff, v7, v6
	s_wait_alu 0xfffe
	v_add_co_ci_u32_e64 v13, s0, 0, v13, s0
	v_or_b32_e32 v14, 0x1000, v4
	v_med3_i32 v16, v16, 0, 13
	v_cmp_ne_u32_e64 s0, 0, v0
	v_lshrrev_b32_e32 v20, 8, v7
	v_bfe_u32 v22, v7, 20, 11
	v_lshrrev_b32_e32 v7, 16, v7
	v_lshrrev_b32_e32 v19, v16, v14
	s_wait_alu 0xf1ff
	v_cndmask_b32_e64 v0, 0, 1, s0
	v_cmp_gt_i32_e64 s0, 31, v17
	s_delay_alu instid0(VALU_DEP_3) | instskip(NEXT) | instid1(VALU_DEP_3)
	v_lshlrev_b32_e32 v16, v16, v19
	v_lshl_or_b32 v0, v0, 9, 0x7c00
	s_wait_alu 0xf1ff
	s_delay_alu instid0(VALU_DEP_3) | instskip(SKIP_3) | instid1(VALU_DEP_2)
	v_cndmask_b32_e64 v13, 0x7c00, v13, s0
	v_cmp_ne_u32_e64 s0, 0, v6
	v_and_or_b32 v11, 0x1ff, v12, v11
	s_wait_alu 0xf1ff
	v_cndmask_b32_e64 v6, 0, 1, s0
	v_cmp_ne_u32_e64 s0, v16, v14
	v_add_nc_u32_e32 v16, 0xfffffc10, v21
	v_bfe_u32 v21, v12, 20, 11
	s_delay_alu instid0(VALU_DEP_4)
	v_and_or_b32 v6, 0xffe, v20, v6
	s_wait_alu 0xf1ff
	v_cndmask_b32_e64 v14, 0, 1, s0
	v_sub_nc_u32_e32 v20, 0x3f1, v22
	v_cmp_eq_u32_e64 s0, 0x40f, v17
	v_or_b32_e32 v17, 0x1000, v6
	s_wait_alu 0xf1ff
	s_delay_alu instid0(VALU_DEP_2)
	v_cndmask_b32_e64 v0, v13, v0, s0
	v_or_b32_e32 v13, v19, v14
	v_lshl_or_b32 v14, v16, 12, v4
	v_med3_i32 v19, v20, 0, 13
	v_cmp_gt_i32_e64 s0, 1, v16
	v_lshrrev_b32_e32 v20, 8, v12
	v_and_or_b32 v0, 0x8000, v1, v0
	s_wait_alu 0xf1ff
	s_delay_alu instid0(VALU_DEP_3) | instskip(SKIP_3) | instid1(VALU_DEP_4)
	v_cndmask_b32_e64 v13, v14, v13, s0
	v_lshrrev_b32_e32 v14, v19, v17
	v_cmp_ne_u32_e64 s0, 0, v11
	v_and_b32_e32 v0, 0xffff, v0
	v_and_b32_e32 v23, 7, v13
	s_delay_alu instid0(VALU_DEP_4)
	v_lshlrev_b32_e32 v19, v19, v14
	s_wait_alu 0xf1ff
	v_cndmask_b32_e64 v11, 0, 1, s0
	v_lshrrev_b32_e32 v13, 2, v13
	v_cmp_lt_i32_e64 s0, 5, v23
	v_cmp_ne_u32_e64 s1, v19, v17
	s_delay_alu instid0(VALU_DEP_4)
	v_and_or_b32 v1, 0xffe, v20, v11
	v_sub_nc_u32_e32 v11, 0x3f1, v21
	v_add_nc_u32_e32 v20, 0xfffffc10, v22
	s_wait_alu 0xf1ff
	v_cndmask_b32_e64 v17, 0, 1, s1
	v_cmp_eq_u32_e64 s1, 3, v23
	v_or_b32_e32 v19, 0x1000, v1
	v_med3_i32 v11, v11, 0, 13
	v_lshl_or_b32 v22, v20, 12, v6
	v_or_b32_e32 v14, v14, v17
	s_or_b32 s0, s1, s0
	s_wait_alu 0xfffe
	v_add_co_ci_u32_e64 v13, s0, 0, v13, s0
	v_lshrrev_b32_e32 v17, v11, v19
	v_cmp_gt_i32_e64 s0, 1, v20
	s_delay_alu instid0(VALU_DEP_2) | instskip(SKIP_1) | instid1(VALU_DEP_2)
	v_lshlrev_b32_e32 v11, v11, v17
	s_wait_alu 0xf1ff
	v_cndmask_b32_e64 v14, v22, v14, s0
	v_cmp_ne_u32_e64 s0, 0, v4
	s_wait_alu 0xf1ff
	s_delay_alu instid0(VALU_DEP_1) | instskip(SKIP_3) | instid1(VALU_DEP_4)
	v_cndmask_b32_e64 v4, 0, 1, s0
	v_cmp_ne_u32_e64 s0, v11, v19
	v_add_nc_u32_e32 v19, 0xfffffc10, v21
	v_and_b32_e32 v21, 7, v14
	v_lshl_or_b32 v4, v4, 9, 0x7c00
	s_wait_alu 0xf1ff
	v_cndmask_b32_e64 v11, 0, 1, s0
	v_cmp_gt_i32_e64 s0, 31, v16
	v_cmp_gt_i32_e64 s2, 1, v19
	v_cmp_eq_u32_e64 s1, 3, v21
	s_delay_alu instid0(VALU_DEP_4) | instskip(SKIP_4) | instid1(VALU_DEP_3)
	v_or_b32_e32 v11, v17, v11
	v_lshl_or_b32 v17, v19, 12, v1
	s_wait_alu 0xf1ff
	v_cndmask_b32_e64 v13, 0x7c00, v13, s0
	v_cmp_lt_i32_e64 s0, 5, v21
	v_cndmask_b32_e64 v11, v17, v11, s2
	v_cmp_eq_u32_e64 s2, 0x40f, v16
	s_delay_alu instid0(VALU_DEP_3) | instskip(NEXT) | instid1(VALU_DEP_1)
	s_or_b32 s0, s1, s0
	v_cndmask_b32_e64 v4, v13, v4, s2
	v_lshrrev_b32_e32 v13, 2, v14
	v_and_b32_e32 v14, 7, v11
	v_lshrrev_b32_e32 v11, 2, v11
	v_cmp_gt_i32_e64 s2, 31, v20
	s_wait_alu 0xfffe
	v_add_co_ci_u32_e64 v13, s0, 0, v13, s0
	v_cmp_ne_u32_e64 s0, 0, v6
	v_cmp_eq_u32_e64 s1, 3, v14
	s_wait_alu 0xf1ff
	s_delay_alu instid0(VALU_DEP_3) | instskip(NEXT) | instid1(VALU_DEP_3)
	v_cndmask_b32_e64 v13, 0x7c00, v13, s2
	v_cndmask_b32_e64 v6, 0, 1, s0
	v_cmp_lt_i32_e64 s0, 5, v14
	s_delay_alu instid0(VALU_DEP_2) | instskip(NEXT) | instid1(VALU_DEP_2)
	v_lshl_or_b32 v6, v6, 9, 0x7c00
	s_or_b32 s0, s1, s0
	s_wait_alu 0xfffe
	v_add_co_ci_u32_e64 v11, s0, 0, v11, s0
	v_cmp_ne_u32_e64 s0, 0, v1
	s_wait_alu 0xf1ff
	s_delay_alu instid0(VALU_DEP_1) | instskip(SKIP_1) | instid1(VALU_DEP_2)
	v_cndmask_b32_e64 v1, 0, 1, s0
	v_cmp_eq_u32_e64 s0, 0x40f, v20
	v_lshl_or_b32 v1, v1, 9, 0x7c00
	s_wait_alu 0xf1ff
	s_delay_alu instid0(VALU_DEP_2) | instskip(SKIP_2) | instid1(VALU_DEP_3)
	v_cndmask_b32_e64 v6, v13, v6, s0
	v_cmp_gt_i32_e64 s0, 31, v19
	v_and_or_b32 v13, 0x8000, v5, v4
	v_and_or_b32 v6, 0x8000, v7, v6
	s_wait_alu 0xf1ff
	s_delay_alu instid0(VALU_DEP_3) | instskip(SKIP_3) | instid1(VALU_DEP_2)
	v_cndmask_b32_e64 v11, 0x7c00, v11, s0
	v_cmp_eq_u32_e64 s0, 0x40f, v19
	v_lshrrev_b32_e32 v7, 16, v12
	s_wait_alu 0xf1ff
	v_cndmask_b32_e64 v1, v11, v1, s0
	v_add_co_u32 v4, s0, v2, s6
	s_wait_alu 0xf1ff
	v_add_co_ci_u32_e64 v5, s0, s7, v3, s0
	v_lshl_or_b32 v11, v13, 16, v0
	v_and_or_b32 v0, 0x8000, v7, v1
	v_and_b32_e32 v1, 0xffff, v6
	v_add_co_u32 v6, s0, v4, s6
	s_wait_alu 0xf1ff
	v_add_co_ci_u32_e64 v7, s0, s7, v5, s0
	s_delay_alu instid0(VALU_DEP_3) | instskip(NEXT) | instid1(VALU_DEP_3)
	v_lshl_or_b32 v12, v0, 16, v1
	v_add_co_u32 v0, s0, v6, s6
	s_wait_alu 0xf1ff
	s_delay_alu instid0(VALU_DEP_3)
	v_add_co_ci_u32_e64 v1, s0, s7, v7, s0
	global_store_b32 v[9:10], v18, off
	global_store_b32 v[2:3], v15, off
	;; [unrolled: 1-line block ×5, first 2 shown]
	s_and_b32 exec_lo, exec_lo, vcc_lo
	s_cbranch_execz .LBB0_31
; %bb.30:
	global_load_b32 v4, v[40:41], off offset:720
	v_add_nc_u32_e32 v2, 0x280, v110
	ds_load_2addr_b32 v[2:3], v2 offset0:20 offset1:245
	s_wait_dscnt 0x0
	v_lshrrev_b32_e32 v5, 16, v2
	s_wait_loadcnt 0x0
	v_lshrrev_b32_e32 v6, 16, v4
	s_delay_alu instid0(VALU_DEP_1) | instskip(SKIP_1) | instid1(VALU_DEP_2)
	v_mul_f16_e32 v7, v5, v6
	v_mul_f16_e32 v6, v2, v6
	v_fmac_f16_e32 v7, v2, v4
	s_delay_alu instid0(VALU_DEP_2) | instskip(NEXT) | instid1(VALU_DEP_2)
	v_fma_f16 v2, v4, v5, -v6
	v_cvt_f32_f16_e32 v4, v7
	s_delay_alu instid0(VALU_DEP_2) | instskip(NEXT) | instid1(VALU_DEP_2)
	v_cvt_f32_f16_e32 v2, v2
	v_cvt_f64_f32_e32 v[4:5], v4
	s_delay_alu instid0(VALU_DEP_2) | instskip(NEXT) | instid1(VALU_DEP_2)
	v_cvt_f64_f32_e32 v[6:7], v2
	v_mul_f64_e32 v[4:5], s[10:11], v[4:5]
	s_delay_alu instid0(VALU_DEP_2) | instskip(NEXT) | instid1(VALU_DEP_2)
	v_mul_f64_e32 v[6:7], s[10:11], v[6:7]
	v_and_or_b32 v2, 0x1ff, v5, v4
	s_delay_alu instid0(VALU_DEP_2)
	v_and_or_b32 v6, 0x1ff, v7, v6
	v_lshrrev_b32_e32 v4, 8, v5
	v_bfe_u32 v8, v5, 20, 11
	v_lshrrev_b32_e32 v9, 8, v7
	v_cmp_ne_u32_e32 vcc_lo, 0, v2
	v_bfe_u32 v10, v7, 20, 11
	v_lshrrev_b32_e32 v5, 16, v5
	v_sub_nc_u32_e32 v11, 0x3f1, v8
	v_add_nc_u32_e32 v8, 0xfffffc10, v8
	s_wait_alu 0xfffd
	v_cndmask_b32_e64 v2, 0, 1, vcc_lo
	v_cmp_ne_u32_e32 vcc_lo, 0, v6
	v_lshrrev_b32_e32 v7, 16, v7
	s_delay_alu instid0(VALU_DEP_3) | instskip(SKIP_4) | instid1(VALU_DEP_3)
	v_and_or_b32 v2, 0xffe, v4, v2
	s_wait_alu 0xfffd
	v_cndmask_b32_e64 v6, 0, 1, vcc_lo
	v_sub_nc_u32_e32 v4, 0x3f1, v10
	v_add_nc_u32_e32 v10, 0xfffffc10, v10
	v_and_or_b32 v6, 0xffe, v9, v6
	v_med3_i32 v9, v11, 0, 13
	v_or_b32_e32 v11, 0x1000, v2
	v_med3_i32 v4, v4, 0, 13
	s_delay_alu instid0(VALU_DEP_4) | instskip(NEXT) | instid1(VALU_DEP_3)
	v_or_b32_e32 v12, 0x1000, v6
	v_lshrrev_b32_e32 v13, v9, v11
	s_delay_alu instid0(VALU_DEP_2) | instskip(NEXT) | instid1(VALU_DEP_2)
	v_lshrrev_b32_e32 v14, v4, v12
	v_lshlrev_b32_e32 v9, v9, v13
	s_delay_alu instid0(VALU_DEP_2) | instskip(NEXT) | instid1(VALU_DEP_2)
	v_lshlrev_b32_e32 v4, v4, v14
	v_cmp_ne_u32_e32 vcc_lo, v9, v11
	v_lshl_or_b32 v11, v8, 12, v2
	s_wait_alu 0xfffd
	v_cndmask_b32_e64 v9, 0, 1, vcc_lo
	v_cmp_ne_u32_e32 vcc_lo, v4, v12
	v_lshl_or_b32 v12, v10, 12, v6
	s_delay_alu instid0(VALU_DEP_3) | instskip(SKIP_3) | instid1(VALU_DEP_2)
	v_or_b32_e32 v9, v13, v9
	s_wait_alu 0xfffd
	v_cndmask_b32_e64 v4, 0, 1, vcc_lo
	v_cmp_gt_i32_e32 vcc_lo, 1, v8
	v_or_b32_e32 v4, v14, v4
	s_wait_alu 0xfffd
	v_cndmask_b32_e32 v9, v11, v9, vcc_lo
	v_cmp_gt_i32_e32 vcc_lo, 1, v10
	s_wait_alu 0xfffd
	s_delay_alu instid0(VALU_DEP_2) | instskip(SKIP_2) | instid1(VALU_DEP_3)
	v_dual_cndmask_b32 v4, v12, v4 :: v_dual_and_b32 v11, 7, v9
	v_cmp_ne_u32_e32 vcc_lo, 0, v2
	v_lshrrev_b32_e32 v9, 2, v9
	v_cmp_eq_u32_e64 s0, 3, v11
	s_delay_alu instid0(VALU_DEP_4)
	v_and_b32_e32 v12, 7, v4
	s_wait_alu 0xfffd
	v_cndmask_b32_e64 v2, 0, 1, vcc_lo
	v_cmp_ne_u32_e32 vcc_lo, 0, v6
	v_lshrrev_b32_e32 v4, 2, v4
	v_cmp_lt_i32_e64 s1, 5, v12
	v_cmp_eq_u32_e64 s2, 3, v12
	s_wait_alu 0xfffd
	v_cndmask_b32_e64 v6, 0, 1, vcc_lo
	v_cmp_lt_i32_e32 vcc_lo, 5, v11
	v_lshl_or_b32 v2, v2, 9, 0x7c00
	s_delay_alu instid0(VALU_DEP_3)
	v_lshl_or_b32 v6, v6, 9, 0x7c00
	s_or_b32 vcc_lo, s0, vcc_lo
	s_wait_alu 0xfffe
	v_add_co_ci_u32_e32 v9, vcc_lo, 0, v9, vcc_lo
	s_or_b32 vcc_lo, s2, s1
	s_wait_alu 0xfffe
	v_add_co_ci_u32_e32 v4, vcc_lo, 0, v4, vcc_lo
	v_cmp_gt_i32_e32 vcc_lo, 31, v8
	s_wait_alu 0xfffd
	v_cndmask_b32_e32 v9, 0x7c00, v9, vcc_lo
	v_cmp_gt_i32_e32 vcc_lo, 31, v10
	s_wait_alu 0xfffd
	v_cndmask_b32_e32 v4, 0x7c00, v4, vcc_lo
	v_cmp_eq_u32_e32 vcc_lo, 0x40f, v8
	s_wait_alu 0xfffd
	v_cndmask_b32_e32 v2, v9, v2, vcc_lo
	v_cmp_eq_u32_e32 vcc_lo, 0x40f, v10
	s_delay_alu instid0(VALU_DEP_2)
	v_and_or_b32 v2, 0x8000, v5, v2
	s_wait_alu 0xfffd
	v_cndmask_b32_e32 v4, v4, v6, vcc_lo
	v_add_co_u32 v0, vcc_lo, v0, s4
	s_wait_alu 0xfffd
	v_add_co_ci_u32_e32 v1, vcc_lo, s5, v1, vcc_lo
	s_delay_alu instid0(VALU_DEP_3) | instskip(SKIP_1) | instid1(VALU_DEP_1)
	v_and_or_b32 v4, 0x8000, v7, v4
	v_and_b32_e32 v2, 0xffff, v2
	v_lshl_or_b32 v2, v4, 16, v2
	v_lshrrev_b32_e32 v4, 16, v3
	global_store_b32 v[0:1], v2, off
	global_load_b32 v2, v[40:41], off offset:1620
	s_wait_loadcnt 0x0
	v_lshrrev_b32_e32 v5, 16, v2
	s_delay_alu instid0(VALU_DEP_1) | instskip(SKIP_1) | instid1(VALU_DEP_2)
	v_mul_f16_e32 v6, v4, v5
	v_mul_f16_e32 v5, v3, v5
	v_fmac_f16_e32 v6, v3, v2
	s_delay_alu instid0(VALU_DEP_2) | instskip(NEXT) | instid1(VALU_DEP_2)
	v_fma_f16 v2, v2, v4, -v5
	v_cvt_f32_f16_e32 v3, v6
	s_delay_alu instid0(VALU_DEP_2) | instskip(NEXT) | instid1(VALU_DEP_2)
	v_cvt_f32_f16_e32 v4, v2
	v_cvt_f64_f32_e32 v[2:3], v3
	s_delay_alu instid0(VALU_DEP_2) | instskip(NEXT) | instid1(VALU_DEP_2)
	v_cvt_f64_f32_e32 v[4:5], v4
	v_mul_f64_e32 v[2:3], s[10:11], v[2:3]
	s_delay_alu instid0(VALU_DEP_2) | instskip(NEXT) | instid1(VALU_DEP_2)
	v_mul_f64_e32 v[4:5], s[10:11], v[4:5]
	v_and_or_b32 v2, 0x1ff, v3, v2
	s_delay_alu instid0(VALU_DEP_2)
	v_and_or_b32 v4, 0x1ff, v5, v4
	v_lshrrev_b32_e32 v6, 8, v3
	v_bfe_u32 v7, v3, 20, 11
	v_lshrrev_b32_e32 v8, 8, v5
	v_cmp_ne_u32_e32 vcc_lo, 0, v2
	v_bfe_u32 v9, v5, 20, 11
	v_lshrrev_b32_e32 v3, 16, v3
	v_sub_nc_u32_e32 v10, 0x3f1, v7
	v_add_nc_u32_e32 v7, 0xfffffc10, v7
	s_wait_alu 0xfffd
	v_cndmask_b32_e64 v2, 0, 1, vcc_lo
	v_cmp_ne_u32_e32 vcc_lo, 0, v4
	v_lshrrev_b32_e32 v5, 16, v5
	s_delay_alu instid0(VALU_DEP_3) | instskip(SKIP_4) | instid1(VALU_DEP_3)
	v_and_or_b32 v2, 0xffe, v6, v2
	s_wait_alu 0xfffd
	v_cndmask_b32_e64 v4, 0, 1, vcc_lo
	v_sub_nc_u32_e32 v6, 0x3f1, v9
	v_add_nc_u32_e32 v9, 0xfffffc10, v9
	v_and_or_b32 v4, 0xffe, v8, v4
	v_med3_i32 v8, v10, 0, 13
	v_or_b32_e32 v10, 0x1000, v2
	v_med3_i32 v6, v6, 0, 13
	s_delay_alu instid0(VALU_DEP_4) | instskip(NEXT) | instid1(VALU_DEP_3)
	v_or_b32_e32 v11, 0x1000, v4
	v_lshrrev_b32_e32 v12, v8, v10
	s_delay_alu instid0(VALU_DEP_2) | instskip(NEXT) | instid1(VALU_DEP_2)
	v_lshrrev_b32_e32 v13, v6, v11
	v_lshlrev_b32_e32 v8, v8, v12
	s_delay_alu instid0(VALU_DEP_2) | instskip(NEXT) | instid1(VALU_DEP_2)
	v_lshlrev_b32_e32 v6, v6, v13
	v_cmp_ne_u32_e32 vcc_lo, v8, v10
	v_lshl_or_b32 v10, v7, 12, v2
	s_wait_alu 0xfffd
	v_cndmask_b32_e64 v8, 0, 1, vcc_lo
	v_cmp_ne_u32_e32 vcc_lo, v6, v11
	v_lshl_or_b32 v11, v9, 12, v4
	s_delay_alu instid0(VALU_DEP_3) | instskip(SKIP_3) | instid1(VALU_DEP_2)
	v_or_b32_e32 v8, v12, v8
	s_wait_alu 0xfffd
	v_cndmask_b32_e64 v6, 0, 1, vcc_lo
	v_cmp_gt_i32_e32 vcc_lo, 1, v7
	v_or_b32_e32 v6, v13, v6
	s_wait_alu 0xfffd
	v_cndmask_b32_e32 v8, v10, v8, vcc_lo
	v_cmp_gt_i32_e32 vcc_lo, 1, v9
	s_wait_alu 0xfffd
	v_cndmask_b32_e32 v6, v11, v6, vcc_lo
	v_cmp_ne_u32_e32 vcc_lo, 0, v2
	s_delay_alu instid0(VALU_DEP_2)
	v_and_b32_e32 v11, 7, v6
	s_wait_alu 0xfffd
	v_cndmask_b32_e64 v2, 0, 1, vcc_lo
	v_and_b32_e32 v10, 7, v8
	v_cmp_ne_u32_e32 vcc_lo, 0, v4
	v_lshrrev_b32_e32 v8, 2, v8
	v_cmp_lt_i32_e64 s1, 5, v11
	v_cmp_eq_u32_e64 s2, 3, v11
	v_cmp_eq_u32_e64 s0, 3, v10
	s_wait_alu 0xfffd
	v_cndmask_b32_e64 v4, 0, 1, vcc_lo
	v_cmp_lt_i32_e32 vcc_lo, 5, v10
	v_lshrrev_b32_e32 v6, 2, v6
	v_lshl_or_b32 v2, v2, 9, 0x7c00
	s_delay_alu instid0(VALU_DEP_4)
	v_lshl_or_b32 v4, v4, 9, 0x7c00
	s_or_b32 vcc_lo, s0, vcc_lo
	s_wait_alu 0xfffe
	v_add_co_ci_u32_e32 v8, vcc_lo, 0, v8, vcc_lo
	s_or_b32 vcc_lo, s2, s1
	s_wait_alu 0xfffe
	v_add_co_ci_u32_e32 v6, vcc_lo, 0, v6, vcc_lo
	v_cmp_gt_i32_e32 vcc_lo, 31, v7
	s_wait_alu 0xfffd
	v_cndmask_b32_e32 v8, 0x7c00, v8, vcc_lo
	v_cmp_gt_i32_e32 vcc_lo, 31, v9
	s_wait_alu 0xfffd
	v_cndmask_b32_e32 v6, 0x7c00, v6, vcc_lo
	v_cmp_eq_u32_e32 vcc_lo, 0x40f, v7
	s_wait_alu 0xfffd
	v_cndmask_b32_e32 v2, v8, v2, vcc_lo
	v_cmp_eq_u32_e32 vcc_lo, 0x40f, v9
	s_delay_alu instid0(VALU_DEP_2)
	v_and_or_b32 v2, 0x8000, v3, v2
	s_wait_alu 0xfffd
	v_cndmask_b32_e32 v4, v6, v4, vcc_lo
	v_add_co_u32 v0, vcc_lo, v0, s6
	s_wait_alu 0xfffd
	v_add_co_ci_u32_e32 v1, vcc_lo, s7, v1, vcc_lo
	s_delay_alu instid0(VALU_DEP_3) | instskip(SKIP_1) | instid1(VALU_DEP_1)
	v_and_or_b32 v3, 0x8000, v5, v4
	v_and_b32_e32 v2, 0xffff, v2
	v_lshl_or_b32 v2, v3, 16, v2
	global_store_b32 v[0:1], v2, off
	global_load_b32 v4, v[40:41], off offset:2520
	v_add_nc_u32_e32 v2, 0x980, v110
	ds_load_2addr_b32 v[2:3], v2 offset0:22 offset1:247
	s_wait_dscnt 0x0
	v_lshrrev_b32_e32 v5, 16, v2
	s_wait_loadcnt 0x0
	v_lshrrev_b32_e32 v6, 16, v4
	s_delay_alu instid0(VALU_DEP_1) | instskip(SKIP_1) | instid1(VALU_DEP_2)
	v_mul_f16_e32 v7, v5, v6
	v_mul_f16_e32 v6, v2, v6
	v_fmac_f16_e32 v7, v2, v4
	s_delay_alu instid0(VALU_DEP_2) | instskip(NEXT) | instid1(VALU_DEP_2)
	v_fma_f16 v2, v4, v5, -v6
	v_cvt_f32_f16_e32 v4, v7
	s_delay_alu instid0(VALU_DEP_2) | instskip(NEXT) | instid1(VALU_DEP_2)
	v_cvt_f32_f16_e32 v2, v2
	v_cvt_f64_f32_e32 v[4:5], v4
	s_delay_alu instid0(VALU_DEP_2) | instskip(NEXT) | instid1(VALU_DEP_2)
	v_cvt_f64_f32_e32 v[6:7], v2
	v_mul_f64_e32 v[4:5], s[10:11], v[4:5]
	s_delay_alu instid0(VALU_DEP_2) | instskip(NEXT) | instid1(VALU_DEP_2)
	v_mul_f64_e32 v[6:7], s[10:11], v[6:7]
	v_and_or_b32 v2, 0x1ff, v5, v4
	s_delay_alu instid0(VALU_DEP_2)
	v_and_or_b32 v6, 0x1ff, v7, v6
	v_lshrrev_b32_e32 v4, 8, v5
	v_bfe_u32 v8, v5, 20, 11
	v_lshrrev_b32_e32 v9, 8, v7
	v_cmp_ne_u32_e32 vcc_lo, 0, v2
	v_bfe_u32 v10, v7, 20, 11
	v_lshrrev_b32_e32 v5, 16, v5
	v_sub_nc_u32_e32 v11, 0x3f1, v8
	v_add_nc_u32_e32 v8, 0xfffffc10, v8
	s_wait_alu 0xfffd
	v_cndmask_b32_e64 v2, 0, 1, vcc_lo
	v_cmp_ne_u32_e32 vcc_lo, 0, v6
	v_lshrrev_b32_e32 v7, 16, v7
	s_delay_alu instid0(VALU_DEP_3) | instskip(SKIP_4) | instid1(VALU_DEP_3)
	v_and_or_b32 v2, 0xffe, v4, v2
	s_wait_alu 0xfffd
	v_cndmask_b32_e64 v6, 0, 1, vcc_lo
	v_sub_nc_u32_e32 v4, 0x3f1, v10
	v_add_nc_u32_e32 v10, 0xfffffc10, v10
	v_and_or_b32 v6, 0xffe, v9, v6
	v_med3_i32 v9, v11, 0, 13
	v_or_b32_e32 v11, 0x1000, v2
	v_med3_i32 v4, v4, 0, 13
	s_delay_alu instid0(VALU_DEP_4) | instskip(NEXT) | instid1(VALU_DEP_3)
	v_or_b32_e32 v12, 0x1000, v6
	v_lshrrev_b32_e32 v13, v9, v11
	s_delay_alu instid0(VALU_DEP_2) | instskip(NEXT) | instid1(VALU_DEP_2)
	v_lshrrev_b32_e32 v14, v4, v12
	v_lshlrev_b32_e32 v9, v9, v13
	s_delay_alu instid0(VALU_DEP_2) | instskip(NEXT) | instid1(VALU_DEP_2)
	v_lshlrev_b32_e32 v4, v4, v14
	v_cmp_ne_u32_e32 vcc_lo, v9, v11
	v_lshl_or_b32 v11, v8, 12, v2
	s_wait_alu 0xfffd
	v_cndmask_b32_e64 v9, 0, 1, vcc_lo
	v_cmp_ne_u32_e32 vcc_lo, v4, v12
	v_lshl_or_b32 v12, v10, 12, v6
	s_delay_alu instid0(VALU_DEP_3) | instskip(SKIP_3) | instid1(VALU_DEP_2)
	v_or_b32_e32 v9, v13, v9
	s_wait_alu 0xfffd
	v_cndmask_b32_e64 v4, 0, 1, vcc_lo
	v_cmp_gt_i32_e32 vcc_lo, 1, v8
	v_or_b32_e32 v4, v14, v4
	s_wait_alu 0xfffd
	v_cndmask_b32_e32 v9, v11, v9, vcc_lo
	v_cmp_gt_i32_e32 vcc_lo, 1, v10
	s_wait_alu 0xfffd
	s_delay_alu instid0(VALU_DEP_2) | instskip(SKIP_2) | instid1(VALU_DEP_3)
	v_dual_cndmask_b32 v4, v12, v4 :: v_dual_and_b32 v11, 7, v9
	v_cmp_ne_u32_e32 vcc_lo, 0, v2
	v_lshrrev_b32_e32 v9, 2, v9
	v_cmp_eq_u32_e64 s0, 3, v11
	s_delay_alu instid0(VALU_DEP_4)
	v_and_b32_e32 v12, 7, v4
	s_wait_alu 0xfffd
	v_cndmask_b32_e64 v2, 0, 1, vcc_lo
	v_cmp_ne_u32_e32 vcc_lo, 0, v6
	v_lshrrev_b32_e32 v4, 2, v4
	v_cmp_lt_i32_e64 s1, 5, v12
	v_cmp_eq_u32_e64 s2, 3, v12
	s_wait_alu 0xfffd
	v_cndmask_b32_e64 v6, 0, 1, vcc_lo
	v_cmp_lt_i32_e32 vcc_lo, 5, v11
	v_lshl_or_b32 v2, v2, 9, 0x7c00
	s_delay_alu instid0(VALU_DEP_3)
	v_lshl_or_b32 v6, v6, 9, 0x7c00
	s_or_b32 vcc_lo, s0, vcc_lo
	s_wait_alu 0xfffe
	v_add_co_ci_u32_e32 v9, vcc_lo, 0, v9, vcc_lo
	s_or_b32 vcc_lo, s2, s1
	s_wait_alu 0xfffe
	v_add_co_ci_u32_e32 v4, vcc_lo, 0, v4, vcc_lo
	v_cmp_gt_i32_e32 vcc_lo, 31, v8
	s_wait_alu 0xfffd
	v_cndmask_b32_e32 v9, 0x7c00, v9, vcc_lo
	v_cmp_gt_i32_e32 vcc_lo, 31, v10
	s_wait_alu 0xfffd
	v_cndmask_b32_e32 v4, 0x7c00, v4, vcc_lo
	v_cmp_eq_u32_e32 vcc_lo, 0x40f, v8
	s_wait_alu 0xfffd
	v_cndmask_b32_e32 v2, v9, v2, vcc_lo
	v_cmp_eq_u32_e32 vcc_lo, 0x40f, v10
	s_delay_alu instid0(VALU_DEP_2)
	v_and_or_b32 v2, 0x8000, v5, v2
	s_wait_alu 0xfffd
	v_cndmask_b32_e32 v4, v4, v6, vcc_lo
	v_add_co_u32 v0, vcc_lo, v0, s6
	s_wait_alu 0xfffd
	v_add_co_ci_u32_e32 v1, vcc_lo, s7, v1, vcc_lo
	s_delay_alu instid0(VALU_DEP_3) | instskip(SKIP_1) | instid1(VALU_DEP_1)
	v_and_or_b32 v4, 0x8000, v7, v4
	v_and_b32_e32 v2, 0xffff, v2
	v_lshl_or_b32 v2, v4, 16, v2
	v_lshrrev_b32_e32 v4, 16, v3
	global_store_b32 v[0:1], v2, off
	global_load_b32 v2, v[40:41], off offset:3420
	s_wait_loadcnt 0x0
	v_lshrrev_b32_e32 v5, 16, v2
	s_delay_alu instid0(VALU_DEP_1) | instskip(SKIP_1) | instid1(VALU_DEP_2)
	v_mul_f16_e32 v6, v4, v5
	v_mul_f16_e32 v5, v3, v5
	v_fmac_f16_e32 v6, v3, v2
	s_delay_alu instid0(VALU_DEP_2) | instskip(NEXT) | instid1(VALU_DEP_2)
	v_fma_f16 v2, v2, v4, -v5
	v_cvt_f32_f16_e32 v3, v6
	s_delay_alu instid0(VALU_DEP_2) | instskip(NEXT) | instid1(VALU_DEP_2)
	v_cvt_f32_f16_e32 v4, v2
	v_cvt_f64_f32_e32 v[2:3], v3
	s_delay_alu instid0(VALU_DEP_2) | instskip(NEXT) | instid1(VALU_DEP_2)
	v_cvt_f64_f32_e32 v[4:5], v4
	v_mul_f64_e32 v[2:3], s[10:11], v[2:3]
	s_delay_alu instid0(VALU_DEP_2) | instskip(NEXT) | instid1(VALU_DEP_2)
	v_mul_f64_e32 v[4:5], s[10:11], v[4:5]
	v_and_or_b32 v2, 0x1ff, v3, v2
	s_delay_alu instid0(VALU_DEP_2)
	v_and_or_b32 v4, 0x1ff, v5, v4
	v_lshrrev_b32_e32 v6, 8, v3
	v_bfe_u32 v7, v3, 20, 11
	v_lshrrev_b32_e32 v8, 8, v5
	v_cmp_ne_u32_e32 vcc_lo, 0, v2
	v_bfe_u32 v9, v5, 20, 11
	v_lshrrev_b32_e32 v3, 16, v3
	v_sub_nc_u32_e32 v10, 0x3f1, v7
	v_add_nc_u32_e32 v7, 0xfffffc10, v7
	s_wait_alu 0xfffd
	v_cndmask_b32_e64 v2, 0, 1, vcc_lo
	v_cmp_ne_u32_e32 vcc_lo, 0, v4
	v_lshrrev_b32_e32 v5, 16, v5
	s_delay_alu instid0(VALU_DEP_3) | instskip(SKIP_4) | instid1(VALU_DEP_3)
	v_and_or_b32 v2, 0xffe, v6, v2
	s_wait_alu 0xfffd
	v_cndmask_b32_e64 v4, 0, 1, vcc_lo
	v_sub_nc_u32_e32 v6, 0x3f1, v9
	v_add_nc_u32_e32 v9, 0xfffffc10, v9
	v_and_or_b32 v4, 0xffe, v8, v4
	v_med3_i32 v8, v10, 0, 13
	v_or_b32_e32 v10, 0x1000, v2
	v_med3_i32 v6, v6, 0, 13
	s_delay_alu instid0(VALU_DEP_4) | instskip(NEXT) | instid1(VALU_DEP_3)
	v_or_b32_e32 v11, 0x1000, v4
	v_lshrrev_b32_e32 v12, v8, v10
	s_delay_alu instid0(VALU_DEP_2) | instskip(NEXT) | instid1(VALU_DEP_2)
	v_lshrrev_b32_e32 v13, v6, v11
	v_lshlrev_b32_e32 v8, v8, v12
	s_delay_alu instid0(VALU_DEP_2) | instskip(NEXT) | instid1(VALU_DEP_2)
	v_lshlrev_b32_e32 v6, v6, v13
	v_cmp_ne_u32_e32 vcc_lo, v8, v10
	v_lshl_or_b32 v10, v7, 12, v2
	s_wait_alu 0xfffd
	v_cndmask_b32_e64 v8, 0, 1, vcc_lo
	v_cmp_ne_u32_e32 vcc_lo, v6, v11
	v_lshl_or_b32 v11, v9, 12, v4
	s_delay_alu instid0(VALU_DEP_3) | instskip(SKIP_3) | instid1(VALU_DEP_2)
	v_or_b32_e32 v8, v12, v8
	s_wait_alu 0xfffd
	v_cndmask_b32_e64 v6, 0, 1, vcc_lo
	v_cmp_gt_i32_e32 vcc_lo, 1, v7
	v_or_b32_e32 v6, v13, v6
	s_wait_alu 0xfffd
	v_cndmask_b32_e32 v8, v10, v8, vcc_lo
	v_cmp_gt_i32_e32 vcc_lo, 1, v9
	s_delay_alu instid0(VALU_DEP_2)
	v_and_b32_e32 v10, 7, v8
	s_wait_alu 0xfffd
	v_cndmask_b32_e32 v6, v11, v6, vcc_lo
	v_cmp_ne_u32_e32 vcc_lo, 0, v2
	v_lshrrev_b32_e32 v8, 2, v8
	v_cmp_eq_u32_e64 s0, 3, v10
	s_delay_alu instid0(VALU_DEP_4)
	v_and_b32_e32 v11, 7, v6
	s_wait_alu 0xfffd
	v_cndmask_b32_e64 v2, 0, 1, vcc_lo
	v_cmp_ne_u32_e32 vcc_lo, 0, v4
	v_lshrrev_b32_e32 v6, 2, v6
	v_cmp_lt_i32_e64 s1, 5, v11
	v_cmp_eq_u32_e64 s2, 3, v11
	s_wait_alu 0xfffd
	v_cndmask_b32_e64 v4, 0, 1, vcc_lo
	v_cmp_lt_i32_e32 vcc_lo, 5, v10
	v_lshl_or_b32 v2, v2, 9, 0x7c00
	s_delay_alu instid0(VALU_DEP_3)
	v_lshl_or_b32 v4, v4, 9, 0x7c00
	s_or_b32 vcc_lo, s0, vcc_lo
	s_wait_alu 0xfffe
	v_add_co_ci_u32_e32 v8, vcc_lo, 0, v8, vcc_lo
	s_or_b32 vcc_lo, s2, s1
	s_wait_alu 0xfffe
	v_add_co_ci_u32_e32 v6, vcc_lo, 0, v6, vcc_lo
	v_cmp_gt_i32_e32 vcc_lo, 31, v7
	s_wait_alu 0xfffd
	v_cndmask_b32_e32 v8, 0x7c00, v8, vcc_lo
	v_cmp_gt_i32_e32 vcc_lo, 31, v9
	s_wait_alu 0xfffd
	v_cndmask_b32_e32 v6, 0x7c00, v6, vcc_lo
	v_cmp_eq_u32_e32 vcc_lo, 0x40f, v7
	s_wait_alu 0xfffd
	v_cndmask_b32_e32 v2, v8, v2, vcc_lo
	v_cmp_eq_u32_e32 vcc_lo, 0x40f, v9
	s_delay_alu instid0(VALU_DEP_2)
	v_and_or_b32 v2, 0x8000, v3, v2
	s_wait_alu 0xfffd
	v_cndmask_b32_e32 v4, v6, v4, vcc_lo
	v_add_co_u32 v0, vcc_lo, v0, s6
	s_wait_alu 0xfffd
	v_add_co_ci_u32_e32 v1, vcc_lo, s7, v1, vcc_lo
	s_delay_alu instid0(VALU_DEP_3) | instskip(SKIP_1) | instid1(VALU_DEP_1)
	v_and_or_b32 v3, 0x8000, v5, v4
	v_and_b32_e32 v2, 0xffff, v2
	v_lshl_or_b32 v2, v3, 16, v2
	global_store_b32 v[0:1], v2, off
	global_load_b32 v4, v[40:41], off offset:4320
	v_add_nc_u32_e32 v2, 0x1080, v110
	ds_load_2addr_b32 v[2:3], v2 offset0:24 offset1:249
	s_wait_dscnt 0x0
	v_lshrrev_b32_e32 v5, 16, v2
	s_wait_loadcnt 0x0
	v_lshrrev_b32_e32 v6, 16, v4
	s_delay_alu instid0(VALU_DEP_1) | instskip(SKIP_1) | instid1(VALU_DEP_2)
	v_mul_f16_e32 v7, v5, v6
	v_mul_f16_e32 v6, v2, v6
	v_fmac_f16_e32 v7, v2, v4
	s_delay_alu instid0(VALU_DEP_2) | instskip(NEXT) | instid1(VALU_DEP_2)
	v_fma_f16 v2, v4, v5, -v6
	v_cvt_f32_f16_e32 v4, v7
	s_delay_alu instid0(VALU_DEP_2) | instskip(NEXT) | instid1(VALU_DEP_2)
	v_cvt_f32_f16_e32 v2, v2
	v_cvt_f64_f32_e32 v[4:5], v4
	s_delay_alu instid0(VALU_DEP_2) | instskip(NEXT) | instid1(VALU_DEP_2)
	v_cvt_f64_f32_e32 v[6:7], v2
	v_mul_f64_e32 v[4:5], s[10:11], v[4:5]
	s_delay_alu instid0(VALU_DEP_2) | instskip(NEXT) | instid1(VALU_DEP_2)
	v_mul_f64_e32 v[6:7], s[10:11], v[6:7]
	v_and_or_b32 v2, 0x1ff, v5, v4
	s_delay_alu instid0(VALU_DEP_2)
	v_and_or_b32 v6, 0x1ff, v7, v6
	v_lshrrev_b32_e32 v4, 8, v5
	v_bfe_u32 v8, v5, 20, 11
	v_lshrrev_b32_e32 v9, 8, v7
	v_cmp_ne_u32_e32 vcc_lo, 0, v2
	v_bfe_u32 v10, v7, 20, 11
	v_lshrrev_b32_e32 v5, 16, v5
	v_sub_nc_u32_e32 v11, 0x3f1, v8
	v_add_nc_u32_e32 v8, 0xfffffc10, v8
	s_wait_alu 0xfffd
	v_cndmask_b32_e64 v2, 0, 1, vcc_lo
	v_cmp_ne_u32_e32 vcc_lo, 0, v6
	v_lshrrev_b32_e32 v7, 16, v7
	s_delay_alu instid0(VALU_DEP_3) | instskip(SKIP_4) | instid1(VALU_DEP_3)
	v_and_or_b32 v2, 0xffe, v4, v2
	s_wait_alu 0xfffd
	v_cndmask_b32_e64 v6, 0, 1, vcc_lo
	v_sub_nc_u32_e32 v4, 0x3f1, v10
	v_add_nc_u32_e32 v10, 0xfffffc10, v10
	v_and_or_b32 v6, 0xffe, v9, v6
	v_med3_i32 v9, v11, 0, 13
	v_or_b32_e32 v11, 0x1000, v2
	v_med3_i32 v4, v4, 0, 13
	s_delay_alu instid0(VALU_DEP_4) | instskip(NEXT) | instid1(VALU_DEP_3)
	v_or_b32_e32 v12, 0x1000, v6
	v_lshrrev_b32_e32 v13, v9, v11
	s_delay_alu instid0(VALU_DEP_2) | instskip(NEXT) | instid1(VALU_DEP_2)
	v_lshrrev_b32_e32 v14, v4, v12
	v_lshlrev_b32_e32 v9, v9, v13
	s_delay_alu instid0(VALU_DEP_2) | instskip(NEXT) | instid1(VALU_DEP_2)
	v_lshlrev_b32_e32 v4, v4, v14
	v_cmp_ne_u32_e32 vcc_lo, v9, v11
	v_lshl_or_b32 v11, v8, 12, v2
	s_wait_alu 0xfffd
	v_cndmask_b32_e64 v9, 0, 1, vcc_lo
	v_cmp_ne_u32_e32 vcc_lo, v4, v12
	v_lshl_or_b32 v12, v10, 12, v6
	s_delay_alu instid0(VALU_DEP_3) | instskip(SKIP_3) | instid1(VALU_DEP_2)
	v_or_b32_e32 v9, v13, v9
	s_wait_alu 0xfffd
	v_cndmask_b32_e64 v4, 0, 1, vcc_lo
	v_cmp_gt_i32_e32 vcc_lo, 1, v8
	v_or_b32_e32 v4, v14, v4
	s_wait_alu 0xfffd
	v_cndmask_b32_e32 v9, v11, v9, vcc_lo
	v_cmp_gt_i32_e32 vcc_lo, 1, v10
	s_wait_alu 0xfffd
	s_delay_alu instid0(VALU_DEP_2) | instskip(SKIP_2) | instid1(VALU_DEP_3)
	v_dual_cndmask_b32 v4, v12, v4 :: v_dual_and_b32 v11, 7, v9
	v_cmp_ne_u32_e32 vcc_lo, 0, v2
	v_lshrrev_b32_e32 v9, 2, v9
	v_cmp_eq_u32_e64 s0, 3, v11
	s_delay_alu instid0(VALU_DEP_4)
	v_and_b32_e32 v12, 7, v4
	s_wait_alu 0xfffd
	v_cndmask_b32_e64 v2, 0, 1, vcc_lo
	v_cmp_ne_u32_e32 vcc_lo, 0, v6
	v_lshrrev_b32_e32 v4, 2, v4
	v_cmp_lt_i32_e64 s1, 5, v12
	v_cmp_eq_u32_e64 s2, 3, v12
	s_wait_alu 0xfffd
	v_cndmask_b32_e64 v6, 0, 1, vcc_lo
	v_cmp_lt_i32_e32 vcc_lo, 5, v11
	v_lshl_or_b32 v2, v2, 9, 0x7c00
	s_delay_alu instid0(VALU_DEP_3)
	v_lshl_or_b32 v6, v6, 9, 0x7c00
	s_or_b32 vcc_lo, s0, vcc_lo
	s_wait_alu 0xfffe
	v_add_co_ci_u32_e32 v9, vcc_lo, 0, v9, vcc_lo
	s_or_b32 vcc_lo, s2, s1
	s_wait_alu 0xfffe
	v_add_co_ci_u32_e32 v4, vcc_lo, 0, v4, vcc_lo
	v_cmp_gt_i32_e32 vcc_lo, 31, v8
	s_wait_alu 0xfffd
	v_cndmask_b32_e32 v9, 0x7c00, v9, vcc_lo
	v_cmp_gt_i32_e32 vcc_lo, 31, v10
	s_wait_alu 0xfffd
	v_cndmask_b32_e32 v4, 0x7c00, v4, vcc_lo
	v_cmp_eq_u32_e32 vcc_lo, 0x40f, v8
	s_wait_alu 0xfffd
	v_cndmask_b32_e32 v2, v9, v2, vcc_lo
	v_cmp_eq_u32_e32 vcc_lo, 0x40f, v10
	s_delay_alu instid0(VALU_DEP_2)
	v_and_or_b32 v2, 0x8000, v5, v2
	s_wait_alu 0xfffd
	v_cndmask_b32_e32 v4, v4, v6, vcc_lo
	v_add_co_u32 v0, vcc_lo, v0, s6
	s_wait_alu 0xfffd
	v_add_co_ci_u32_e32 v1, vcc_lo, s7, v1, vcc_lo
	s_delay_alu instid0(VALU_DEP_3) | instskip(SKIP_1) | instid1(VALU_DEP_1)
	v_and_or_b32 v4, 0x8000, v7, v4
	v_and_b32_e32 v2, 0xffff, v2
	v_lshl_or_b32 v2, v4, 16, v2
	v_lshrrev_b32_e32 v4, 16, v3
	global_store_b32 v[0:1], v2, off
	global_load_b32 v2, v[40:41], off offset:5220
	s_wait_loadcnt 0x0
	v_lshrrev_b32_e32 v5, 16, v2
	s_delay_alu instid0(VALU_DEP_1) | instskip(SKIP_1) | instid1(VALU_DEP_2)
	v_mul_f16_e32 v6, v4, v5
	v_mul_f16_e32 v5, v3, v5
	v_fmac_f16_e32 v6, v3, v2
	s_delay_alu instid0(VALU_DEP_2) | instskip(NEXT) | instid1(VALU_DEP_2)
	v_fma_f16 v2, v2, v4, -v5
	v_cvt_f32_f16_e32 v3, v6
	s_delay_alu instid0(VALU_DEP_2) | instskip(NEXT) | instid1(VALU_DEP_2)
	v_cvt_f32_f16_e32 v4, v2
	v_cvt_f64_f32_e32 v[2:3], v3
	s_delay_alu instid0(VALU_DEP_2) | instskip(NEXT) | instid1(VALU_DEP_2)
	v_cvt_f64_f32_e32 v[4:5], v4
	v_mul_f64_e32 v[2:3], s[10:11], v[2:3]
	s_delay_alu instid0(VALU_DEP_2) | instskip(NEXT) | instid1(VALU_DEP_2)
	v_mul_f64_e32 v[4:5], s[10:11], v[4:5]
	v_and_or_b32 v2, 0x1ff, v3, v2
	s_delay_alu instid0(VALU_DEP_2)
	v_and_or_b32 v4, 0x1ff, v5, v4
	v_lshrrev_b32_e32 v6, 8, v3
	v_bfe_u32 v7, v3, 20, 11
	v_lshrrev_b32_e32 v8, 8, v5
	v_cmp_ne_u32_e32 vcc_lo, 0, v2
	v_bfe_u32 v9, v5, 20, 11
	v_lshrrev_b32_e32 v3, 16, v3
	v_sub_nc_u32_e32 v10, 0x3f1, v7
	v_add_nc_u32_e32 v7, 0xfffffc10, v7
	s_wait_alu 0xfffd
	v_cndmask_b32_e64 v2, 0, 1, vcc_lo
	v_cmp_ne_u32_e32 vcc_lo, 0, v4
	v_lshrrev_b32_e32 v5, 16, v5
	s_delay_alu instid0(VALU_DEP_3) | instskip(SKIP_4) | instid1(VALU_DEP_3)
	v_and_or_b32 v2, 0xffe, v6, v2
	s_wait_alu 0xfffd
	v_cndmask_b32_e64 v4, 0, 1, vcc_lo
	v_sub_nc_u32_e32 v6, 0x3f1, v9
	v_add_nc_u32_e32 v9, 0xfffffc10, v9
	v_and_or_b32 v4, 0xffe, v8, v4
	v_med3_i32 v8, v10, 0, 13
	v_or_b32_e32 v10, 0x1000, v2
	v_med3_i32 v6, v6, 0, 13
	s_delay_alu instid0(VALU_DEP_4) | instskip(NEXT) | instid1(VALU_DEP_3)
	v_or_b32_e32 v11, 0x1000, v4
	v_lshrrev_b32_e32 v12, v8, v10
	s_delay_alu instid0(VALU_DEP_2) | instskip(NEXT) | instid1(VALU_DEP_2)
	v_lshrrev_b32_e32 v13, v6, v11
	v_lshlrev_b32_e32 v8, v8, v12
	s_delay_alu instid0(VALU_DEP_2) | instskip(NEXT) | instid1(VALU_DEP_2)
	v_lshlrev_b32_e32 v6, v6, v13
	v_cmp_ne_u32_e32 vcc_lo, v8, v10
	v_lshl_or_b32 v10, v7, 12, v2
	s_wait_alu 0xfffd
	v_cndmask_b32_e64 v8, 0, 1, vcc_lo
	v_cmp_ne_u32_e32 vcc_lo, v6, v11
	v_lshl_or_b32 v11, v9, 12, v4
	s_delay_alu instid0(VALU_DEP_3) | instskip(SKIP_3) | instid1(VALU_DEP_2)
	v_or_b32_e32 v8, v12, v8
	s_wait_alu 0xfffd
	v_cndmask_b32_e64 v6, 0, 1, vcc_lo
	v_cmp_gt_i32_e32 vcc_lo, 1, v7
	v_or_b32_e32 v6, v13, v6
	s_wait_alu 0xfffd
	v_cndmask_b32_e32 v8, v10, v8, vcc_lo
	v_cmp_gt_i32_e32 vcc_lo, 1, v9
	s_delay_alu instid0(VALU_DEP_2)
	v_and_b32_e32 v10, 7, v8
	s_wait_alu 0xfffd
	v_cndmask_b32_e32 v6, v11, v6, vcc_lo
	v_cmp_ne_u32_e32 vcc_lo, 0, v2
	v_lshrrev_b32_e32 v8, 2, v8
	v_cmp_eq_u32_e64 s0, 3, v10
	s_delay_alu instid0(VALU_DEP_4)
	v_and_b32_e32 v11, 7, v6
	s_wait_alu 0xfffd
	v_cndmask_b32_e64 v2, 0, 1, vcc_lo
	v_cmp_ne_u32_e32 vcc_lo, 0, v4
	v_lshrrev_b32_e32 v6, 2, v6
	v_cmp_lt_i32_e64 s1, 5, v11
	v_cmp_eq_u32_e64 s2, 3, v11
	s_wait_alu 0xfffd
	v_cndmask_b32_e64 v4, 0, 1, vcc_lo
	v_cmp_lt_i32_e32 vcc_lo, 5, v10
	v_lshl_or_b32 v2, v2, 9, 0x7c00
	s_delay_alu instid0(VALU_DEP_3)
	v_lshl_or_b32 v4, v4, 9, 0x7c00
	s_or_b32 vcc_lo, s0, vcc_lo
	s_wait_alu 0xfffe
	v_add_co_ci_u32_e32 v8, vcc_lo, 0, v8, vcc_lo
	s_or_b32 vcc_lo, s2, s1
	s_wait_alu 0xfffe
	v_add_co_ci_u32_e32 v6, vcc_lo, 0, v6, vcc_lo
	v_cmp_gt_i32_e32 vcc_lo, 31, v7
	s_wait_alu 0xfffd
	v_cndmask_b32_e32 v8, 0x7c00, v8, vcc_lo
	v_cmp_gt_i32_e32 vcc_lo, 31, v9
	s_wait_alu 0xfffd
	v_cndmask_b32_e32 v6, 0x7c00, v6, vcc_lo
	v_cmp_eq_u32_e32 vcc_lo, 0x40f, v7
	s_wait_alu 0xfffd
	v_cndmask_b32_e32 v2, v8, v2, vcc_lo
	v_cmp_eq_u32_e32 vcc_lo, 0x40f, v9
	s_delay_alu instid0(VALU_DEP_2)
	v_and_or_b32 v2, 0x8000, v3, v2
	s_wait_alu 0xfffd
	v_cndmask_b32_e32 v4, v6, v4, vcc_lo
	v_add_co_u32 v0, vcc_lo, v0, s6
	s_wait_alu 0xfffd
	v_add_co_ci_u32_e32 v1, vcc_lo, s7, v1, vcc_lo
	s_delay_alu instid0(VALU_DEP_3) | instskip(SKIP_1) | instid1(VALU_DEP_1)
	v_and_or_b32 v3, 0x8000, v5, v4
	v_and_b32_e32 v2, 0xffff, v2
	v_lshl_or_b32 v2, v3, 16, v2
	global_store_b32 v[0:1], v2, off
	global_load_b32 v4, v[40:41], off offset:6120
	v_add_nc_u32_e32 v2, 0x1780, v110
	ds_load_2addr_b32 v[2:3], v2 offset0:26 offset1:251
	s_wait_dscnt 0x0
	v_lshrrev_b32_e32 v5, 16, v2
	s_wait_loadcnt 0x0
	v_lshrrev_b32_e32 v6, 16, v4
	s_delay_alu instid0(VALU_DEP_1) | instskip(SKIP_1) | instid1(VALU_DEP_2)
	v_mul_f16_e32 v7, v5, v6
	v_mul_f16_e32 v6, v2, v6
	v_fmac_f16_e32 v7, v2, v4
	s_delay_alu instid0(VALU_DEP_2) | instskip(NEXT) | instid1(VALU_DEP_2)
	v_fma_f16 v2, v4, v5, -v6
	v_cvt_f32_f16_e32 v4, v7
	s_delay_alu instid0(VALU_DEP_2) | instskip(NEXT) | instid1(VALU_DEP_2)
	v_cvt_f32_f16_e32 v2, v2
	v_cvt_f64_f32_e32 v[4:5], v4
	s_delay_alu instid0(VALU_DEP_2) | instskip(NEXT) | instid1(VALU_DEP_2)
	v_cvt_f64_f32_e32 v[6:7], v2
	v_mul_f64_e32 v[4:5], s[10:11], v[4:5]
	s_delay_alu instid0(VALU_DEP_2) | instskip(NEXT) | instid1(VALU_DEP_2)
	v_mul_f64_e32 v[6:7], s[10:11], v[6:7]
	v_and_or_b32 v2, 0x1ff, v5, v4
	s_delay_alu instid0(VALU_DEP_2)
	v_and_or_b32 v6, 0x1ff, v7, v6
	v_lshrrev_b32_e32 v4, 8, v5
	v_bfe_u32 v8, v5, 20, 11
	v_lshrrev_b32_e32 v9, 8, v7
	v_cmp_ne_u32_e32 vcc_lo, 0, v2
	v_bfe_u32 v10, v7, 20, 11
	v_lshrrev_b32_e32 v5, 16, v5
	v_sub_nc_u32_e32 v11, 0x3f1, v8
	v_add_nc_u32_e32 v8, 0xfffffc10, v8
	s_wait_alu 0xfffd
	v_cndmask_b32_e64 v2, 0, 1, vcc_lo
	v_cmp_ne_u32_e32 vcc_lo, 0, v6
	v_lshrrev_b32_e32 v7, 16, v7
	s_delay_alu instid0(VALU_DEP_3) | instskip(SKIP_4) | instid1(VALU_DEP_3)
	v_and_or_b32 v2, 0xffe, v4, v2
	s_wait_alu 0xfffd
	v_cndmask_b32_e64 v6, 0, 1, vcc_lo
	v_sub_nc_u32_e32 v4, 0x3f1, v10
	v_add_nc_u32_e32 v10, 0xfffffc10, v10
	v_and_or_b32 v6, 0xffe, v9, v6
	v_med3_i32 v9, v11, 0, 13
	v_or_b32_e32 v11, 0x1000, v2
	v_med3_i32 v4, v4, 0, 13
	s_delay_alu instid0(VALU_DEP_4) | instskip(NEXT) | instid1(VALU_DEP_3)
	v_or_b32_e32 v12, 0x1000, v6
	v_lshrrev_b32_e32 v13, v9, v11
	s_delay_alu instid0(VALU_DEP_2) | instskip(NEXT) | instid1(VALU_DEP_2)
	v_lshrrev_b32_e32 v14, v4, v12
	v_lshlrev_b32_e32 v9, v9, v13
	s_delay_alu instid0(VALU_DEP_2) | instskip(NEXT) | instid1(VALU_DEP_2)
	v_lshlrev_b32_e32 v4, v4, v14
	v_cmp_ne_u32_e32 vcc_lo, v9, v11
	v_lshl_or_b32 v11, v8, 12, v2
	s_wait_alu 0xfffd
	v_cndmask_b32_e64 v9, 0, 1, vcc_lo
	v_cmp_ne_u32_e32 vcc_lo, v4, v12
	v_lshl_or_b32 v12, v10, 12, v6
	s_delay_alu instid0(VALU_DEP_3) | instskip(SKIP_3) | instid1(VALU_DEP_2)
	v_or_b32_e32 v9, v13, v9
	s_wait_alu 0xfffd
	v_cndmask_b32_e64 v4, 0, 1, vcc_lo
	v_cmp_gt_i32_e32 vcc_lo, 1, v8
	v_or_b32_e32 v4, v14, v4
	s_wait_alu 0xfffd
	v_cndmask_b32_e32 v9, v11, v9, vcc_lo
	v_cmp_gt_i32_e32 vcc_lo, 1, v10
	s_wait_alu 0xfffd
	s_delay_alu instid0(VALU_DEP_2) | instskip(SKIP_2) | instid1(VALU_DEP_3)
	v_dual_cndmask_b32 v4, v12, v4 :: v_dual_and_b32 v11, 7, v9
	v_cmp_ne_u32_e32 vcc_lo, 0, v2
	v_lshrrev_b32_e32 v9, 2, v9
	v_cmp_eq_u32_e64 s0, 3, v11
	s_delay_alu instid0(VALU_DEP_4)
	v_and_b32_e32 v12, 7, v4
	s_wait_alu 0xfffd
	v_cndmask_b32_e64 v2, 0, 1, vcc_lo
	v_cmp_ne_u32_e32 vcc_lo, 0, v6
	v_lshrrev_b32_e32 v4, 2, v4
	v_cmp_lt_i32_e64 s1, 5, v12
	v_cmp_eq_u32_e64 s2, 3, v12
	s_wait_alu 0xfffd
	v_cndmask_b32_e64 v6, 0, 1, vcc_lo
	v_cmp_lt_i32_e32 vcc_lo, 5, v11
	v_lshl_or_b32 v2, v2, 9, 0x7c00
	s_delay_alu instid0(VALU_DEP_3)
	v_lshl_or_b32 v6, v6, 9, 0x7c00
	s_or_b32 vcc_lo, s0, vcc_lo
	s_wait_alu 0xfffe
	v_add_co_ci_u32_e32 v9, vcc_lo, 0, v9, vcc_lo
	s_or_b32 vcc_lo, s2, s1
	s_wait_alu 0xfffe
	v_add_co_ci_u32_e32 v4, vcc_lo, 0, v4, vcc_lo
	v_cmp_gt_i32_e32 vcc_lo, 31, v8
	s_wait_alu 0xfffd
	v_cndmask_b32_e32 v9, 0x7c00, v9, vcc_lo
	v_cmp_gt_i32_e32 vcc_lo, 31, v10
	s_wait_alu 0xfffd
	v_cndmask_b32_e32 v4, 0x7c00, v4, vcc_lo
	v_cmp_eq_u32_e32 vcc_lo, 0x40f, v8
	s_wait_alu 0xfffd
	v_cndmask_b32_e32 v2, v9, v2, vcc_lo
	v_cmp_eq_u32_e32 vcc_lo, 0x40f, v10
	s_delay_alu instid0(VALU_DEP_2)
	v_and_or_b32 v2, 0x8000, v5, v2
	s_wait_alu 0xfffd
	v_cndmask_b32_e32 v4, v4, v6, vcc_lo
	v_add_co_u32 v0, vcc_lo, v0, s6
	s_wait_alu 0xfffd
	v_add_co_ci_u32_e32 v1, vcc_lo, s7, v1, vcc_lo
	s_delay_alu instid0(VALU_DEP_3) | instskip(SKIP_1) | instid1(VALU_DEP_1)
	v_and_or_b32 v4, 0x8000, v7, v4
	v_and_b32_e32 v2, 0xffff, v2
	v_lshl_or_b32 v2, v4, 16, v2
	v_lshrrev_b32_e32 v4, 16, v3
	global_store_b32 v[0:1], v2, off
	global_load_b32 v2, v[40:41], off offset:7020
	s_wait_loadcnt 0x0
	v_lshrrev_b32_e32 v5, 16, v2
	s_delay_alu instid0(VALU_DEP_1) | instskip(SKIP_1) | instid1(VALU_DEP_2)
	v_mul_f16_e32 v6, v4, v5
	v_mul_f16_e32 v5, v3, v5
	v_fmac_f16_e32 v6, v3, v2
	s_delay_alu instid0(VALU_DEP_2) | instskip(NEXT) | instid1(VALU_DEP_2)
	v_fma_f16 v2, v2, v4, -v5
	v_cvt_f32_f16_e32 v3, v6
	s_delay_alu instid0(VALU_DEP_2) | instskip(NEXT) | instid1(VALU_DEP_2)
	v_cvt_f32_f16_e32 v4, v2
	v_cvt_f64_f32_e32 v[2:3], v3
	s_delay_alu instid0(VALU_DEP_2) | instskip(NEXT) | instid1(VALU_DEP_2)
	v_cvt_f64_f32_e32 v[4:5], v4
	v_mul_f64_e32 v[2:3], s[10:11], v[2:3]
	s_delay_alu instid0(VALU_DEP_2) | instskip(NEXT) | instid1(VALU_DEP_2)
	v_mul_f64_e32 v[4:5], s[10:11], v[4:5]
	v_and_or_b32 v2, 0x1ff, v3, v2
	s_delay_alu instid0(VALU_DEP_2)
	v_and_or_b32 v4, 0x1ff, v5, v4
	v_lshrrev_b32_e32 v6, 8, v3
	v_bfe_u32 v7, v3, 20, 11
	v_lshrrev_b32_e32 v8, 8, v5
	v_cmp_ne_u32_e32 vcc_lo, 0, v2
	v_bfe_u32 v9, v5, 20, 11
	v_lshrrev_b32_e32 v3, 16, v3
	v_sub_nc_u32_e32 v10, 0x3f1, v7
	v_add_nc_u32_e32 v7, 0xfffffc10, v7
	s_wait_alu 0xfffd
	v_cndmask_b32_e64 v2, 0, 1, vcc_lo
	v_cmp_ne_u32_e32 vcc_lo, 0, v4
	v_lshrrev_b32_e32 v5, 16, v5
	s_delay_alu instid0(VALU_DEP_3) | instskip(SKIP_4) | instid1(VALU_DEP_3)
	v_and_or_b32 v2, 0xffe, v6, v2
	s_wait_alu 0xfffd
	v_cndmask_b32_e64 v4, 0, 1, vcc_lo
	v_sub_nc_u32_e32 v6, 0x3f1, v9
	v_add_nc_u32_e32 v9, 0xfffffc10, v9
	v_and_or_b32 v4, 0xffe, v8, v4
	v_med3_i32 v8, v10, 0, 13
	v_or_b32_e32 v10, 0x1000, v2
	v_med3_i32 v6, v6, 0, 13
	s_delay_alu instid0(VALU_DEP_4) | instskip(NEXT) | instid1(VALU_DEP_3)
	v_or_b32_e32 v11, 0x1000, v4
	v_lshrrev_b32_e32 v12, v8, v10
	s_delay_alu instid0(VALU_DEP_2) | instskip(NEXT) | instid1(VALU_DEP_2)
	v_lshrrev_b32_e32 v13, v6, v11
	v_lshlrev_b32_e32 v8, v8, v12
	s_delay_alu instid0(VALU_DEP_2) | instskip(NEXT) | instid1(VALU_DEP_2)
	v_lshlrev_b32_e32 v6, v6, v13
	v_cmp_ne_u32_e32 vcc_lo, v8, v10
	v_lshl_or_b32 v10, v7, 12, v2
	s_wait_alu 0xfffd
	v_cndmask_b32_e64 v8, 0, 1, vcc_lo
	v_cmp_ne_u32_e32 vcc_lo, v6, v11
	v_lshl_or_b32 v11, v9, 12, v4
	s_delay_alu instid0(VALU_DEP_3) | instskip(SKIP_3) | instid1(VALU_DEP_2)
	v_or_b32_e32 v8, v12, v8
	s_wait_alu 0xfffd
	v_cndmask_b32_e64 v6, 0, 1, vcc_lo
	v_cmp_gt_i32_e32 vcc_lo, 1, v7
	v_or_b32_e32 v6, v13, v6
	s_wait_alu 0xfffd
	v_cndmask_b32_e32 v8, v10, v8, vcc_lo
	v_cmp_gt_i32_e32 vcc_lo, 1, v9
	s_delay_alu instid0(VALU_DEP_2)
	v_and_b32_e32 v10, 7, v8
	s_wait_alu 0xfffd
	v_cndmask_b32_e32 v6, v11, v6, vcc_lo
	v_cmp_ne_u32_e32 vcc_lo, 0, v2
	v_lshrrev_b32_e32 v8, 2, v8
	v_cmp_eq_u32_e64 s0, 3, v10
	s_delay_alu instid0(VALU_DEP_4)
	v_and_b32_e32 v11, 7, v6
	s_wait_alu 0xfffd
	v_cndmask_b32_e64 v2, 0, 1, vcc_lo
	v_cmp_ne_u32_e32 vcc_lo, 0, v4
	v_lshrrev_b32_e32 v6, 2, v6
	v_cmp_lt_i32_e64 s1, 5, v11
	v_cmp_eq_u32_e64 s2, 3, v11
	s_wait_alu 0xfffd
	v_cndmask_b32_e64 v4, 0, 1, vcc_lo
	v_cmp_lt_i32_e32 vcc_lo, 5, v10
	v_lshl_or_b32 v2, v2, 9, 0x7c00
	s_delay_alu instid0(VALU_DEP_3)
	v_lshl_or_b32 v4, v4, 9, 0x7c00
	s_or_b32 vcc_lo, s0, vcc_lo
	s_wait_alu 0xfffe
	v_add_co_ci_u32_e32 v8, vcc_lo, 0, v8, vcc_lo
	s_or_b32 vcc_lo, s2, s1
	s_wait_alu 0xfffe
	v_add_co_ci_u32_e32 v6, vcc_lo, 0, v6, vcc_lo
	v_cmp_gt_i32_e32 vcc_lo, 31, v7
	s_wait_alu 0xfffd
	v_cndmask_b32_e32 v8, 0x7c00, v8, vcc_lo
	v_cmp_gt_i32_e32 vcc_lo, 31, v9
	s_wait_alu 0xfffd
	v_cndmask_b32_e32 v6, 0x7c00, v6, vcc_lo
	v_cmp_eq_u32_e32 vcc_lo, 0x40f, v7
	s_wait_alu 0xfffd
	v_cndmask_b32_e32 v2, v8, v2, vcc_lo
	v_cmp_eq_u32_e32 vcc_lo, 0x40f, v9
	s_delay_alu instid0(VALU_DEP_2)
	v_and_or_b32 v2, 0x8000, v3, v2
	s_wait_alu 0xfffd
	v_cndmask_b32_e32 v4, v6, v4, vcc_lo
	v_add_co_u32 v0, vcc_lo, v0, s6
	s_wait_alu 0xfffd
	v_add_co_ci_u32_e32 v1, vcc_lo, s7, v1, vcc_lo
	s_delay_alu instid0(VALU_DEP_3) | instskip(SKIP_1) | instid1(VALU_DEP_1)
	v_and_or_b32 v3, 0x8000, v5, v4
	v_and_b32_e32 v2, 0xffff, v2
	v_lshl_or_b32 v2, v3, 16, v2
	global_store_b32 v[0:1], v2, off
	global_load_b32 v4, v[40:41], off offset:7920
	v_add_nc_u32_e32 v2, 0x1e80, v110
	ds_load_2addr_b32 v[2:3], v2 offset0:28 offset1:253
	s_wait_dscnt 0x0
	v_lshrrev_b32_e32 v5, 16, v2
	s_wait_loadcnt 0x0
	v_lshrrev_b32_e32 v6, 16, v4
	s_delay_alu instid0(VALU_DEP_1) | instskip(SKIP_1) | instid1(VALU_DEP_2)
	v_mul_f16_e32 v7, v5, v6
	v_mul_f16_e32 v6, v2, v6
	v_fmac_f16_e32 v7, v2, v4
	s_delay_alu instid0(VALU_DEP_2) | instskip(NEXT) | instid1(VALU_DEP_2)
	v_fma_f16 v2, v4, v5, -v6
	v_cvt_f32_f16_e32 v4, v7
	s_delay_alu instid0(VALU_DEP_2) | instskip(NEXT) | instid1(VALU_DEP_2)
	v_cvt_f32_f16_e32 v2, v2
	v_cvt_f64_f32_e32 v[4:5], v4
	s_delay_alu instid0(VALU_DEP_2) | instskip(NEXT) | instid1(VALU_DEP_2)
	v_cvt_f64_f32_e32 v[6:7], v2
	v_mul_f64_e32 v[4:5], s[10:11], v[4:5]
	s_delay_alu instid0(VALU_DEP_2) | instskip(NEXT) | instid1(VALU_DEP_2)
	v_mul_f64_e32 v[6:7], s[10:11], v[6:7]
	v_and_or_b32 v2, 0x1ff, v5, v4
	s_delay_alu instid0(VALU_DEP_2)
	v_and_or_b32 v6, 0x1ff, v7, v6
	v_lshrrev_b32_e32 v4, 8, v5
	v_bfe_u32 v8, v5, 20, 11
	v_lshrrev_b32_e32 v9, 8, v7
	v_cmp_ne_u32_e32 vcc_lo, 0, v2
	v_bfe_u32 v10, v7, 20, 11
	v_lshrrev_b32_e32 v5, 16, v5
	v_sub_nc_u32_e32 v11, 0x3f1, v8
	v_add_nc_u32_e32 v8, 0xfffffc10, v8
	s_wait_alu 0xfffd
	v_cndmask_b32_e64 v2, 0, 1, vcc_lo
	v_cmp_ne_u32_e32 vcc_lo, 0, v6
	v_lshrrev_b32_e32 v7, 16, v7
	s_delay_alu instid0(VALU_DEP_3) | instskip(SKIP_4) | instid1(VALU_DEP_3)
	v_and_or_b32 v2, 0xffe, v4, v2
	s_wait_alu 0xfffd
	v_cndmask_b32_e64 v6, 0, 1, vcc_lo
	v_sub_nc_u32_e32 v4, 0x3f1, v10
	v_add_nc_u32_e32 v10, 0xfffffc10, v10
	v_and_or_b32 v6, 0xffe, v9, v6
	v_med3_i32 v9, v11, 0, 13
	v_or_b32_e32 v11, 0x1000, v2
	v_med3_i32 v4, v4, 0, 13
	s_delay_alu instid0(VALU_DEP_4) | instskip(NEXT) | instid1(VALU_DEP_3)
	v_or_b32_e32 v12, 0x1000, v6
	v_lshrrev_b32_e32 v13, v9, v11
	s_delay_alu instid0(VALU_DEP_2) | instskip(NEXT) | instid1(VALU_DEP_2)
	v_lshrrev_b32_e32 v14, v4, v12
	v_lshlrev_b32_e32 v9, v9, v13
	s_delay_alu instid0(VALU_DEP_2) | instskip(NEXT) | instid1(VALU_DEP_2)
	v_lshlrev_b32_e32 v4, v4, v14
	v_cmp_ne_u32_e32 vcc_lo, v9, v11
	v_lshl_or_b32 v11, v8, 12, v2
	s_wait_alu 0xfffd
	v_cndmask_b32_e64 v9, 0, 1, vcc_lo
	v_cmp_ne_u32_e32 vcc_lo, v4, v12
	v_lshl_or_b32 v12, v10, 12, v6
	s_delay_alu instid0(VALU_DEP_3) | instskip(SKIP_3) | instid1(VALU_DEP_2)
	v_or_b32_e32 v9, v13, v9
	s_wait_alu 0xfffd
	v_cndmask_b32_e64 v4, 0, 1, vcc_lo
	v_cmp_gt_i32_e32 vcc_lo, 1, v8
	v_or_b32_e32 v4, v14, v4
	s_wait_alu 0xfffd
	v_cndmask_b32_e32 v9, v11, v9, vcc_lo
	v_cmp_gt_i32_e32 vcc_lo, 1, v10
	s_wait_alu 0xfffd
	s_delay_alu instid0(VALU_DEP_2) | instskip(SKIP_2) | instid1(VALU_DEP_3)
	v_dual_cndmask_b32 v4, v12, v4 :: v_dual_and_b32 v11, 7, v9
	v_cmp_ne_u32_e32 vcc_lo, 0, v2
	v_lshrrev_b32_e32 v9, 2, v9
	v_cmp_eq_u32_e64 s0, 3, v11
	s_delay_alu instid0(VALU_DEP_4)
	v_and_b32_e32 v12, 7, v4
	s_wait_alu 0xfffd
	v_cndmask_b32_e64 v2, 0, 1, vcc_lo
	v_cmp_ne_u32_e32 vcc_lo, 0, v6
	v_lshrrev_b32_e32 v4, 2, v4
	v_cmp_lt_i32_e64 s1, 5, v12
	v_cmp_eq_u32_e64 s2, 3, v12
	s_wait_alu 0xfffd
	v_cndmask_b32_e64 v6, 0, 1, vcc_lo
	v_cmp_lt_i32_e32 vcc_lo, 5, v11
	v_lshl_or_b32 v2, v2, 9, 0x7c00
	s_delay_alu instid0(VALU_DEP_3)
	v_lshl_or_b32 v6, v6, 9, 0x7c00
	s_or_b32 vcc_lo, s0, vcc_lo
	s_wait_alu 0xfffe
	v_add_co_ci_u32_e32 v9, vcc_lo, 0, v9, vcc_lo
	s_or_b32 vcc_lo, s2, s1
	s_wait_alu 0xfffe
	v_add_co_ci_u32_e32 v4, vcc_lo, 0, v4, vcc_lo
	v_cmp_gt_i32_e32 vcc_lo, 31, v8
	s_wait_alu 0xfffd
	v_cndmask_b32_e32 v9, 0x7c00, v9, vcc_lo
	v_cmp_gt_i32_e32 vcc_lo, 31, v10
	s_wait_alu 0xfffd
	v_cndmask_b32_e32 v4, 0x7c00, v4, vcc_lo
	v_cmp_eq_u32_e32 vcc_lo, 0x40f, v8
	s_wait_alu 0xfffd
	v_cndmask_b32_e32 v2, v9, v2, vcc_lo
	v_cmp_eq_u32_e32 vcc_lo, 0x40f, v10
	s_delay_alu instid0(VALU_DEP_2)
	v_and_or_b32 v2, 0x8000, v5, v2
	s_wait_alu 0xfffd
	v_cndmask_b32_e32 v4, v4, v6, vcc_lo
	v_add_co_u32 v0, vcc_lo, v0, s6
	s_wait_alu 0xfffd
	v_add_co_ci_u32_e32 v1, vcc_lo, s7, v1, vcc_lo
	s_delay_alu instid0(VALU_DEP_3) | instskip(SKIP_1) | instid1(VALU_DEP_1)
	v_and_or_b32 v4, 0x8000, v7, v4
	v_and_b32_e32 v2, 0xffff, v2
	v_lshl_or_b32 v2, v4, 16, v2
	v_lshrrev_b32_e32 v4, 16, v3
	global_store_b32 v[0:1], v2, off
	global_load_b32 v2, v[40:41], off offset:8820
	s_wait_loadcnt 0x0
	v_lshrrev_b32_e32 v5, 16, v2
	s_delay_alu instid0(VALU_DEP_1) | instskip(SKIP_1) | instid1(VALU_DEP_2)
	v_mul_f16_e32 v6, v4, v5
	v_mul_f16_e32 v5, v3, v5
	v_fmac_f16_e32 v6, v3, v2
	s_delay_alu instid0(VALU_DEP_2) | instskip(NEXT) | instid1(VALU_DEP_2)
	v_fma_f16 v2, v2, v4, -v5
	v_cvt_f32_f16_e32 v3, v6
	s_delay_alu instid0(VALU_DEP_2) | instskip(NEXT) | instid1(VALU_DEP_2)
	v_cvt_f32_f16_e32 v4, v2
	v_cvt_f64_f32_e32 v[2:3], v3
	s_delay_alu instid0(VALU_DEP_2) | instskip(NEXT) | instid1(VALU_DEP_2)
	v_cvt_f64_f32_e32 v[4:5], v4
	v_mul_f64_e32 v[2:3], s[10:11], v[2:3]
	s_delay_alu instid0(VALU_DEP_2) | instskip(NEXT) | instid1(VALU_DEP_2)
	v_mul_f64_e32 v[4:5], s[10:11], v[4:5]
	v_and_or_b32 v2, 0x1ff, v3, v2
	s_delay_alu instid0(VALU_DEP_2)
	v_and_or_b32 v4, 0x1ff, v5, v4
	v_lshrrev_b32_e32 v6, 8, v3
	v_bfe_u32 v7, v3, 20, 11
	v_lshrrev_b32_e32 v8, 8, v5
	v_cmp_ne_u32_e32 vcc_lo, 0, v2
	v_bfe_u32 v9, v5, 20, 11
	v_lshrrev_b32_e32 v3, 16, v3
	v_sub_nc_u32_e32 v10, 0x3f1, v7
	v_add_nc_u32_e32 v7, 0xfffffc10, v7
	s_wait_alu 0xfffd
	v_cndmask_b32_e64 v2, 0, 1, vcc_lo
	v_cmp_ne_u32_e32 vcc_lo, 0, v4
	v_lshrrev_b32_e32 v5, 16, v5
	s_delay_alu instid0(VALU_DEP_3) | instskip(SKIP_4) | instid1(VALU_DEP_3)
	v_and_or_b32 v2, 0xffe, v6, v2
	s_wait_alu 0xfffd
	v_cndmask_b32_e64 v4, 0, 1, vcc_lo
	v_sub_nc_u32_e32 v6, 0x3f1, v9
	v_add_nc_u32_e32 v9, 0xfffffc10, v9
	v_and_or_b32 v4, 0xffe, v8, v4
	v_med3_i32 v8, v10, 0, 13
	v_or_b32_e32 v10, 0x1000, v2
	v_med3_i32 v6, v6, 0, 13
	s_delay_alu instid0(VALU_DEP_4) | instskip(NEXT) | instid1(VALU_DEP_3)
	v_or_b32_e32 v11, 0x1000, v4
	v_lshrrev_b32_e32 v12, v8, v10
	s_delay_alu instid0(VALU_DEP_2) | instskip(NEXT) | instid1(VALU_DEP_2)
	v_lshrrev_b32_e32 v13, v6, v11
	v_lshlrev_b32_e32 v8, v8, v12
	s_delay_alu instid0(VALU_DEP_2) | instskip(NEXT) | instid1(VALU_DEP_2)
	v_lshlrev_b32_e32 v6, v6, v13
	v_cmp_ne_u32_e32 vcc_lo, v8, v10
	v_lshl_or_b32 v10, v7, 12, v2
	s_wait_alu 0xfffd
	v_cndmask_b32_e64 v8, 0, 1, vcc_lo
	v_cmp_ne_u32_e32 vcc_lo, v6, v11
	v_lshl_or_b32 v11, v9, 12, v4
	s_delay_alu instid0(VALU_DEP_3) | instskip(SKIP_3) | instid1(VALU_DEP_2)
	v_or_b32_e32 v8, v12, v8
	s_wait_alu 0xfffd
	v_cndmask_b32_e64 v6, 0, 1, vcc_lo
	v_cmp_gt_i32_e32 vcc_lo, 1, v7
	v_or_b32_e32 v6, v13, v6
	s_wait_alu 0xfffd
	v_cndmask_b32_e32 v8, v10, v8, vcc_lo
	v_cmp_gt_i32_e32 vcc_lo, 1, v9
	s_delay_alu instid0(VALU_DEP_2)
	v_and_b32_e32 v10, 7, v8
	s_wait_alu 0xfffd
	v_cndmask_b32_e32 v6, v11, v6, vcc_lo
	v_cmp_ne_u32_e32 vcc_lo, 0, v2
	v_lshrrev_b32_e32 v8, 2, v8
	v_cmp_eq_u32_e64 s0, 3, v10
	s_delay_alu instid0(VALU_DEP_4)
	v_and_b32_e32 v11, 7, v6
	s_wait_alu 0xfffd
	v_cndmask_b32_e64 v2, 0, 1, vcc_lo
	v_cmp_ne_u32_e32 vcc_lo, 0, v4
	v_lshrrev_b32_e32 v6, 2, v6
	v_cmp_lt_i32_e64 s1, 5, v11
	v_cmp_eq_u32_e64 s2, 3, v11
	s_wait_alu 0xfffd
	v_cndmask_b32_e64 v4, 0, 1, vcc_lo
	v_cmp_lt_i32_e32 vcc_lo, 5, v10
	v_lshl_or_b32 v2, v2, 9, 0x7c00
	s_delay_alu instid0(VALU_DEP_3)
	v_lshl_or_b32 v4, v4, 9, 0x7c00
	s_or_b32 vcc_lo, s0, vcc_lo
	s_wait_alu 0xfffe
	v_add_co_ci_u32_e32 v8, vcc_lo, 0, v8, vcc_lo
	s_or_b32 vcc_lo, s2, s1
	s_wait_alu 0xfffe
	v_add_co_ci_u32_e32 v6, vcc_lo, 0, v6, vcc_lo
	v_cmp_gt_i32_e32 vcc_lo, 31, v7
	s_wait_alu 0xfffd
	v_cndmask_b32_e32 v8, 0x7c00, v8, vcc_lo
	v_cmp_gt_i32_e32 vcc_lo, 31, v9
	s_wait_alu 0xfffd
	v_cndmask_b32_e32 v6, 0x7c00, v6, vcc_lo
	v_cmp_eq_u32_e32 vcc_lo, 0x40f, v7
	s_wait_alu 0xfffd
	v_cndmask_b32_e32 v2, v8, v2, vcc_lo
	v_cmp_eq_u32_e32 vcc_lo, 0x40f, v9
	s_delay_alu instid0(VALU_DEP_2)
	v_and_or_b32 v2, 0x8000, v3, v2
	s_wait_alu 0xfffd
	v_cndmask_b32_e32 v4, v6, v4, vcc_lo
	v_add_co_u32 v0, vcc_lo, v0, s6
	s_wait_alu 0xfffd
	v_add_co_ci_u32_e32 v1, vcc_lo, s7, v1, vcc_lo
	s_delay_alu instid0(VALU_DEP_3) | instskip(SKIP_1) | instid1(VALU_DEP_1)
	v_and_or_b32 v3, 0x8000, v5, v4
	v_and_b32_e32 v2, 0xffff, v2
	v_lshl_or_b32 v2, v3, 16, v2
	global_store_b32 v[0:1], v2, off
.LBB0_31:
	s_nop 0
	s_sendmsg sendmsg(MSG_DEALLOC_VGPRS)
	s_endpgm
	.section	.rodata,"a",@progbits
	.p2align	6, 0x0
	.amdhsa_kernel bluestein_single_back_len2250_dim1_half_op_CI_CI
		.amdhsa_group_segment_fixed_size 9000
		.amdhsa_private_segment_fixed_size 48
		.amdhsa_kernarg_size 104
		.amdhsa_user_sgpr_count 2
		.amdhsa_user_sgpr_dispatch_ptr 0
		.amdhsa_user_sgpr_queue_ptr 0
		.amdhsa_user_sgpr_kernarg_segment_ptr 1
		.amdhsa_user_sgpr_dispatch_id 0
		.amdhsa_user_sgpr_private_segment_size 0
		.amdhsa_wavefront_size32 1
		.amdhsa_uses_dynamic_stack 0
		.amdhsa_enable_private_segment 1
		.amdhsa_system_sgpr_workgroup_id_x 1
		.amdhsa_system_sgpr_workgroup_id_y 0
		.amdhsa_system_sgpr_workgroup_id_z 0
		.amdhsa_system_sgpr_workgroup_info 0
		.amdhsa_system_vgpr_workitem_id 0
		.amdhsa_next_free_vgpr 256
		.amdhsa_next_free_sgpr 16
		.amdhsa_reserve_vcc 1
		.amdhsa_float_round_mode_32 0
		.amdhsa_float_round_mode_16_64 0
		.amdhsa_float_denorm_mode_32 3
		.amdhsa_float_denorm_mode_16_64 3
		.amdhsa_fp16_overflow 0
		.amdhsa_workgroup_processor_mode 1
		.amdhsa_memory_ordered 1
		.amdhsa_forward_progress 0
		.amdhsa_round_robin_scheduling 0
		.amdhsa_exception_fp_ieee_invalid_op 0
		.amdhsa_exception_fp_denorm_src 0
		.amdhsa_exception_fp_ieee_div_zero 0
		.amdhsa_exception_fp_ieee_overflow 0
		.amdhsa_exception_fp_ieee_underflow 0
		.amdhsa_exception_fp_ieee_inexact 0
		.amdhsa_exception_int_div_zero 0
	.end_amdhsa_kernel
	.text
.Lfunc_end0:
	.size	bluestein_single_back_len2250_dim1_half_op_CI_CI, .Lfunc_end0-bluestein_single_back_len2250_dim1_half_op_CI_CI
                                        ; -- End function
	.section	.AMDGPU.csdata,"",@progbits
; Kernel info:
; codeLenInByte = 58404
; NumSgprs: 18
; NumVgprs: 256
; ScratchSize: 48
; MemoryBound: 0
; FloatMode: 240
; IeeeMode: 1
; LDSByteSize: 9000 bytes/workgroup (compile time only)
; SGPRBlocks: 2
; VGPRBlocks: 31
; NumSGPRsForWavesPerEU: 18
; NumVGPRsForWavesPerEU: 256
; Occupancy: 5
; WaveLimiterHint : 1
; COMPUTE_PGM_RSRC2:SCRATCH_EN: 1
; COMPUTE_PGM_RSRC2:USER_SGPR: 2
; COMPUTE_PGM_RSRC2:TRAP_HANDLER: 0
; COMPUTE_PGM_RSRC2:TGID_X_EN: 1
; COMPUTE_PGM_RSRC2:TGID_Y_EN: 0
; COMPUTE_PGM_RSRC2:TGID_Z_EN: 0
; COMPUTE_PGM_RSRC2:TIDIG_COMP_CNT: 0
	.text
	.p2alignl 7, 3214868480
	.fill 96, 4, 3214868480
	.type	__hip_cuid_dcb0acaae3d9f424,@object ; @__hip_cuid_dcb0acaae3d9f424
	.section	.bss,"aw",@nobits
	.globl	__hip_cuid_dcb0acaae3d9f424
__hip_cuid_dcb0acaae3d9f424:
	.byte	0                               ; 0x0
	.size	__hip_cuid_dcb0acaae3d9f424, 1

	.ident	"AMD clang version 19.0.0git (https://github.com/RadeonOpenCompute/llvm-project roc-6.4.0 25133 c7fe45cf4b819c5991fe208aaa96edf142730f1d)"
	.section	".note.GNU-stack","",@progbits
	.addrsig
	.addrsig_sym __hip_cuid_dcb0acaae3d9f424
	.amdgpu_metadata
---
amdhsa.kernels:
  - .args:
      - .actual_access:  read_only
        .address_space:  global
        .offset:         0
        .size:           8
        .value_kind:     global_buffer
      - .actual_access:  read_only
        .address_space:  global
        .offset:         8
        .size:           8
        .value_kind:     global_buffer
      - .actual_access:  read_only
        .address_space:  global
        .offset:         16
        .size:           8
        .value_kind:     global_buffer
      - .actual_access:  read_only
        .address_space:  global
        .offset:         24
        .size:           8
        .value_kind:     global_buffer
      - .actual_access:  read_only
        .address_space:  global
        .offset:         32
        .size:           8
        .value_kind:     global_buffer
      - .offset:         40
        .size:           8
        .value_kind:     by_value
      - .address_space:  global
        .offset:         48
        .size:           8
        .value_kind:     global_buffer
      - .address_space:  global
        .offset:         56
        .size:           8
        .value_kind:     global_buffer
      - .address_space:  global
        .offset:         64
        .size:           8
        .value_kind:     global_buffer
      - .address_space:  global
        .offset:         72
        .size:           8
        .value_kind:     global_buffer
      - .offset:         80
        .size:           4
        .value_kind:     by_value
      - .address_space:  global
        .offset:         88
        .size:           8
        .value_kind:     global_buffer
      - .address_space:  global
        .offset:         96
        .size:           8
        .value_kind:     global_buffer
    .group_segment_fixed_size: 9000
    .kernarg_segment_align: 8
    .kernarg_segment_size: 104
    .language:       OpenCL C
    .language_version:
      - 2
      - 0
    .max_flat_workgroup_size: 90
    .name:           bluestein_single_back_len2250_dim1_half_op_CI_CI
    .private_segment_fixed_size: 48
    .sgpr_count:     18
    .sgpr_spill_count: 0
    .symbol:         bluestein_single_back_len2250_dim1_half_op_CI_CI.kd
    .uniform_work_group_size: 1
    .uses_dynamic_stack: false
    .vgpr_count:     256
    .vgpr_spill_count: 11
    .wavefront_size: 32
    .workgroup_processor_mode: 1
amdhsa.target:   amdgcn-amd-amdhsa--gfx1201
amdhsa.version:
  - 1
  - 2
...

	.end_amdgpu_metadata
